;; amdgpu-corpus repo=ROCm/rocFFT kind=compiled arch=gfx1201 opt=O3
	.text
	.amdgcn_target "amdgcn-amd-amdhsa--gfx1201"
	.amdhsa_code_object_version 6
	.protected	bluestein_single_back_len2160_dim1_half_op_CI_CI ; -- Begin function bluestein_single_back_len2160_dim1_half_op_CI_CI
	.globl	bluestein_single_back_len2160_dim1_half_op_CI_CI
	.p2align	8
	.type	bluestein_single_back_len2160_dim1_half_op_CI_CI,@function
bluestein_single_back_len2160_dim1_half_op_CI_CI: ; @bluestein_single_back_len2160_dim1_half_op_CI_CI
; %bb.0:
	s_load_b128 s[8:11], s[0:1], 0x28
	v_mul_u32_u24_e32 v1, 0x445, v0
	s_mov_b32 s2, exec_lo
	v_mov_b32_e32 v71, 0
	s_delay_alu instid0(VALU_DEP_2) | instskip(NEXT) | instid1(VALU_DEP_1)
	v_lshrrev_b32_e32 v1, 16, v1
	v_add_nc_u32_e32 v70, ttmp9, v1
	s_wait_kmcnt 0x0
	s_delay_alu instid0(VALU_DEP_1)
	v_cmpx_gt_u64_e64 s[8:9], v[70:71]
	s_cbranch_execz .LBB0_15
; %bb.1:
	s_clause 0x1
	s_load_b64 s[8:9], s[0:1], 0x0
	s_load_b128 s[4:7], s[0:1], 0x18
	v_mul_lo_u16 v1, v1, 60
	s_delay_alu instid0(VALU_DEP_1) | instskip(NEXT) | instid1(VALU_DEP_1)
	v_sub_nc_u16 v2, v0, v1
	v_and_b32_e32 v171, 0xffff, v2
	s_delay_alu instid0(VALU_DEP_1)
	v_or_b32_e32 v12, 0x6c0, v171
	s_wait_kmcnt 0x0
	s_load_b128 s[12:15], s[4:5], 0x0
	s_wait_kmcnt 0x0
	v_mad_co_u64_u32 v[0:1], null, s14, v70, 0
	v_mad_co_u64_u32 v[3:4], null, s12, v171, 0
	;; [unrolled: 1-line block ×3, first 2 shown]
	s_mul_u64 s[2:3], s[12:13], 0xd8
	s_mul_i32 s4, s13, 0x6c0
	s_delay_alu instid0(VALU_DEP_3) | instskip(SKIP_2) | instid1(VALU_DEP_2)
	v_mad_co_u64_u32 v[9:10], null, s15, v70, v[1:2]
	s_lshl_b64 s[16:17], s[2:3], 2
	s_movk_i32 s2, 0xf8a4
	v_mad_co_u64_u32 v[10:11], null, s13, v171, v[4:5]
	s_mov_b32 s3, -1
	s_delay_alu instid0(SALU_CYCLE_1) | instskip(NEXT) | instid1(SALU_CYCLE_1)
	s_mul_u64 s[2:3], s[12:13], s[2:3]
	s_lshl_b64 s[2:3], s[2:3], 2
	s_delay_alu instid0(VALU_DEP_1)
	v_mov_b32_e32 v4, v10
	v_or_b32_e32 v13, 0x300, v171
	v_lshlrev_b32_e32 v111, 2, v171
	s_clause 0x14
	global_load_b32 v172, v111, s[8:9]
	global_load_b32 v90, v111, s[8:9] offset:240
	global_load_b32 v83, v111, s[8:9] offset:1104
	;; [unrolled: 1-line block ×20, first 2 shown]
	v_mad_co_u64_u32 v[7:8], null, s12, v13, 0
	s_clause 0x3
	global_load_b32 v166, v111, s[8:9] offset:2592
	global_load_b32 v63, v111, s[8:9] offset:2208
	;; [unrolled: 1-line block ×4, first 2 shown]
	s_clause 0x1
	scratch_store_b32 off, v12, off offset:172
	scratch_store_b32 off, v13, off offset:156
	v_lshlrev_b64_e32 v[3:4], 2, v[3:4]
	v_mad_co_u64_u32 v[11:12], null, s13, v12, v[6:7]
	v_mov_b32_e32 v1, v8
	s_delay_alu instid0(VALU_DEP_1) | instskip(NEXT) | instid1(VALU_DEP_3)
	v_mad_co_u64_u32 v[12:13], null, s13, v13, v[1:2]
	v_dual_mov_b32 v6, v11 :: v_dual_mov_b32 v1, v9
	s_clause 0x1
	global_load_b32 v156, v111, s[8:9] offset:6048
	global_load_b32 v56, v111, s[8:9] offset:5664
	v_add_nc_u32_e32 v39, 0x600, v111
	v_add_nc_u32_e32 v40, 0x1a00, v111
	v_lshlrev_b64_e32 v[5:6], 2, v[5:6]
	v_lshlrev_b64_e32 v[0:1], 2, v[0:1]
	v_mov_b32_e32 v8, v12
	s_delay_alu instid0(VALU_DEP_2) | instskip(NEXT) | instid1(VALU_DEP_3)
	v_add_co_u32 v9, vcc_lo, s10, v0
	v_add_co_ci_u32_e32 v10, vcc_lo, s11, v1, vcc_lo
	s_delay_alu instid0(VALU_DEP_3) | instskip(NEXT) | instid1(VALU_DEP_3)
	v_lshlrev_b64_e32 v[0:1], 2, v[7:8]
	v_add_co_u32 v3, vcc_lo, v9, v3
	s_wait_alu 0xfffd
	s_delay_alu instid0(VALU_DEP_3)
	v_add_co_ci_u32_e32 v4, vcc_lo, v10, v4, vcc_lo
	v_add_co_u32 v5, vcc_lo, v9, v5
	s_wait_alu 0xfffd
	v_add_co_ci_u32_e32 v6, vcc_lo, v10, v6, vcc_lo
	v_add_co_u32 v0, vcc_lo, v9, v0
	s_wait_alu 0xfffd
	v_add_co_ci_u32_e32 v1, vcc_lo, v10, v1, vcc_lo
	global_load_b32 v9, v[3:4], off
	s_clause 0x2
	global_load_b32 v57, v111, s[8:9] offset:4800
	global_load_b32 v50, v111, s[8:9] offset:8256
	;; [unrolled: 1-line block ×3, first 2 shown]
	v_add_co_u32 v3, vcc_lo, v3, s16
	s_wait_alu 0xfffd
	v_add_co_ci_u32_e32 v4, vcc_lo, s17, v4, vcc_lo
	s_clause 0x1
	global_load_b32 v10, v[5:6], off
	global_load_b32 v11, v[0:1], off
	v_add_co_u32 v0, vcc_lo, v3, s16
	s_wait_alu 0xfffd
	v_add_co_ci_u32_e32 v1, vcc_lo, s17, v4, vcc_lo
	s_clause 0x1
	global_load_b32 v12, v[3:4], off
	global_load_b32 v13, v[0:1], off
	v_add_co_u32 v0, vcc_lo, v0, s16
	s_wait_alu 0xfffd
	v_add_co_ci_u32_e32 v1, vcc_lo, s17, v1, vcc_lo
	v_add_nc_u32_e32 v8, 0xc00, v111
	s_delay_alu instid0(VALU_DEP_3) | instskip(SKIP_1) | instid1(VALU_DEP_3)
	v_add_co_u32 v3, vcc_lo, v0, s16
	s_wait_alu 0xfffd
	v_add_co_ci_u32_e32 v4, vcc_lo, s17, v1, vcc_lo
	global_load_b32 v14, v[0:1], off
	v_add_nc_u32_e32 v7, 0x1400, v111
	global_load_b32 v15, v[3:4], off
	v_add_co_u32 v0, vcc_lo, v3, s16
	s_wait_alu 0xfffd
	v_add_co_ci_u32_e32 v1, vcc_lo, s17, v4, vcc_lo
	s_delay_alu instid0(VALU_DEP_2) | instskip(SKIP_1) | instid1(VALU_DEP_2)
	v_add_co_u32 v3, vcc_lo, v0, s16
	s_wait_alu 0xfffd
	v_add_co_ci_u32_e32 v4, vcc_lo, s17, v1, vcc_lo
	global_load_b32 v16, v[0:1], off
	v_add_co_u32 v5, vcc_lo, v3, s16
	s_wait_alu 0xfffd
	v_add_co_ci_u32_e32 v6, vcc_lo, s17, v4, vcc_lo
	global_load_b32 v17, v[3:4], off
	global_load_b32 v18, v[5:6], off
	v_mad_co_u64_u32 v[0:1], null, 0x6c0, s12, v[5:6]
	s_delay_alu instid0(VALU_DEP_1)
	v_add_nc_u32_e32 v1, s4, v1
	global_load_b32 v19, v[0:1], off
	v_add_co_u32 v0, vcc_lo, v0, s2
	s_wait_alu 0xfffd
	v_add_co_ci_u32_e32 v1, vcc_lo, s3, v1, vcc_lo
	global_load_b32 v20, v[0:1], off
	v_add_co_u32 v0, vcc_lo, v0, s16
	s_wait_alu 0xfffd
	v_add_co_ci_u32_e32 v1, vcc_lo, s17, v1, vcc_lo
	s_delay_alu instid0(VALU_DEP_2) | instskip(SKIP_1) | instid1(VALU_DEP_2)
	v_add_co_u32 v3, vcc_lo, v0, s16
	s_wait_alu 0xfffd
	v_add_co_ci_u32_e32 v4, vcc_lo, s17, v1, vcc_lo
	global_load_b32 v21, v[0:1], off
	global_load_b32 v22, v[3:4], off
	v_add_co_u32 v0, vcc_lo, v3, s16
	s_wait_alu 0xfffd
	v_add_co_ci_u32_e32 v1, vcc_lo, s17, v4, vcc_lo
	s_delay_alu instid0(VALU_DEP_2) | instskip(SKIP_1) | instid1(VALU_DEP_2)
	v_add_co_u32 v3, vcc_lo, v0, s16
	s_wait_alu 0xfffd
	v_add_co_ci_u32_e32 v4, vcc_lo, s17, v1, vcc_lo
	global_load_b32 v23, v[0:1], off
	v_add_co_u32 v0, vcc_lo, v3, s16
	s_wait_alu 0xfffd
	v_add_co_ci_u32_e32 v1, vcc_lo, s17, v4, vcc_lo
	global_load_b32 v24, v[3:4], off
	;; [unrolled: 4-line block ×3, first 2 shown]
	global_load_b32 v26, v[3:4], off
	v_add_co_u32 v0, vcc_lo, v3, s16
	s_wait_alu 0xfffd
	v_add_co_ci_u32_e32 v1, vcc_lo, s17, v4, vcc_lo
	s_delay_alu instid0(VALU_DEP_2) | instskip(SKIP_1) | instid1(VALU_DEP_2)
	v_add_co_u32 v3, vcc_lo, v0, s16
	s_wait_alu 0xfffd
	v_add_co_ci_u32_e32 v4, vcc_lo, s17, v1, vcc_lo
	global_load_b32 v27, v[0:1], off
	v_add_co_u32 v0, vcc_lo, v3, s16
	s_wait_alu 0xfffd
	v_add_co_ci_u32_e32 v1, vcc_lo, s17, v4, vcc_lo
	global_load_b32 v28, v[3:4], off
	;; [unrolled: 4-line block ×4, first 2 shown]
	global_load_b32 v31, v[0:1], off
	v_add_co_u32 v5, vcc_lo, v0, s16
	s_wait_alu 0xfffd
	v_add_co_ci_u32_e32 v6, vcc_lo, s17, v1, vcc_lo
	s_delay_alu instid0(VALU_DEP_1) | instskip(SKIP_4) | instid1(VALU_DEP_2)
	v_mad_co_u64_u32 v[0:1], null, 0x6c0, s12, v[5:6]
	global_load_b32 v32, v[5:6], off
	v_add_nc_u32_e32 v1, s4, v1
	v_add_co_u32 v3, vcc_lo, v0, s16
	s_wait_alu 0xfffd
	v_add_co_ci_u32_e32 v4, vcc_lo, s17, v1, vcc_lo
	global_load_b32 v33, v[0:1], off
	global_load_b32 v34, v[3:4], off
	v_add_co_u32 v0, vcc_lo, v3, s16
	s_wait_alu 0xfffd
	v_add_co_ci_u32_e32 v1, vcc_lo, s17, v4, vcc_lo
	s_delay_alu instid0(VALU_DEP_2) | instskip(SKIP_1) | instid1(VALU_DEP_2)
	v_add_co_u32 v3, vcc_lo, v0, s16
	s_wait_alu 0xfffd
	v_add_co_ci_u32_e32 v4, vcc_lo, s17, v1, vcc_lo
	global_load_b32 v35, v[0:1], off
	v_add_co_u32 v5, vcc_lo, v3, s16
	s_wait_alu 0xfffd
	v_add_co_ci_u32_e32 v6, vcc_lo, s17, v4, vcc_lo
	global_load_b32 v36, v[3:4], off
	;; [unrolled: 4-line block ×3, first 2 shown]
	global_load_b32 v38, v[0:1], off
	s_load_b64 s[4:5], s[0:1], 0x38
	s_load_b128 s[12:15], s[6:7], 0x0
	v_add_nc_u32_e32 v4, 0xa00, v111
	v_add_nc_u32_e32 v3, 0x400, v111
	;; [unrolled: 1-line block ×3, first 2 shown]
	v_add_co_u32 v68, s6, s8, v111
	s_delay_alu instid0(VALU_DEP_1)
	v_add_co_ci_u32_e64 v69, null, s9, 0, s6
	v_add_nc_u32_e32 v6, 0x1800, v111
	v_cmp_gt_u16_e32 vcc_lo, 36, v2
	s_wait_loadcnt 0x3b
	v_lshrrev_b32_e32 v47, 16, v172
	s_wait_loadcnt 0x3a
	v_lshrrev_b32_e32 v94, 16, v90
	;; [unrolled: 2-line block ×21, first 2 shown]
	scratch_store_b32 off, v62, off offset:48 ; 4-byte Folded Spill
	s_wait_loadcnt 0x26
	v_lshrrev_b32_e32 v99, 16, v166
	scratch_store_b32 off, v92, off offset:160 ; 4-byte Folded Spill
	s_wait_loadcnt 0x24
	v_lshrrev_b32_e32 v77, 16, v67
	scratch_store_b32 off, v72, off offset:76 ; 4-byte Folded Spill
	v_lshrrev_b32_e32 v73, 16, v63
	s_wait_loadcnt 0x23
	v_lshrrev_b32_e32 v55, 16, v54
	s_wait_loadcnt 0x22
	v_lshrrev_b32_e32 v95, 16, v156
	s_wait_loadcnt 0x21
	v_lshrrev_b32_e32 v59, 16, v56
	s_wait_loadcnt 0x20
	v_lshrrev_b32_e32 v41, 16, v9
	v_mul_f16_e32 v42, v47, v9
	s_wait_loadcnt 0x1f
	v_lshrrev_b32_e32 v61, 16, v57
	s_wait_loadcnt 0x1d
	v_lshrrev_b32_e32 v53, 16, v52
	v_lshrrev_b32_e32 v51, 16, v50
	v_mul_f16_e32 v47, v47, v41
	v_fma_f16 v41, v172, v41, -v42
	s_wait_loadcnt 0x1c
	v_lshrrev_b32_e32 v43, 16, v10
	v_mul_f16_e32 v44, v49, v10
	s_wait_loadcnt 0x1b
	v_lshrrev_b32_e32 v45, 16, v11
	v_mul_f16_e32 v46, v72, v11
	v_fmac_f16_e64 v47, v172, v9
	v_mul_f16_e32 v49, v49, v43
	v_fma_f16 v43, v161, v43, -v44
	s_wait_loadcnt 0x1a
	v_lshrrev_b32_e32 v42, 16, v12
	v_mul_f16_e32 v48, v101, v12
	v_mul_f16_e32 v44, v72, v45
	v_fma_f16 v45, v62, v45, -v46
	s_wait_loadcnt 0x19
	v_lshrrev_b32_e32 v46, 16, v13
	v_mul_f16_e32 v9, v101, v42
	v_fma_f16 v42, v169, v42, -v48
	v_mul_f16_e32 v48, v100, v13
	v_fmac_f16_e64 v49, v161, v10
	v_fmac_f16_e32 v44, v62, v11
	v_pack_b32_f16 v10, v47, v41
	v_fmac_f16_e64 v9, v169, v12
	v_mul_f16_e32 v11, v100, v46
	s_wait_loadcnt 0x18
	v_lshrrev_b32_e32 v41, 16, v14
	v_fma_f16 v12, v167, v46, -v48
	v_mul_f16_e32 v46, v99, v14
	v_pack_b32_f16 v44, v44, v45
	v_pack_b32_f16 v9, v9, v42
	v_fmac_f16_e64 v11, v167, v13
	v_mul_f16_e32 v13, v99, v41
	s_wait_loadcnt 0x17
	v_lshrrev_b32_e32 v42, 16, v15
	v_mul_f16_e32 v45, v98, v15
	v_fma_f16 v41, v166, v41, -v46
	v_pack_b32_f16 v11, v11, v12
	v_fmac_f16_e64 v13, v166, v14
	v_mul_f16_e32 v12, v98, v42
	s_wait_loadcnt 0x16
	v_lshrrev_b32_e32 v14, 16, v16
	v_fma_f16 v42, v164, v42, -v45
	v_mul_f16_e32 v45, v97, v16
	v_pack_b32_f16 v13, v13, v41
	v_fmac_f16_e64 v12, v164, v15
	v_mul_f16_e32 v15, v97, v14
	s_wait_loadcnt 0x15
	v_lshrrev_b32_e32 v41, 16, v17
	v_fma_f16 v14, v159, v14, -v45
	s_wait_loadcnt 0x14
	v_lshrrev_b32_e32 v45, 16, v18
	v_mul_f16_e32 v46, v96, v17
	v_pack_b32_f16 v12, v12, v42
	v_mul_f16_e32 v42, v96, v41
	v_mul_f16_e32 v47, v95, v18
	;; [unrolled: 1-line block ×3, first 2 shown]
	v_fmac_f16_e64 v15, v159, v16
	v_fma_f16 v16, v157, v41, -v46
	v_fmac_f16_e64 v42, v157, v17
	v_fma_f16 v17, v156, v45, -v47
	v_fmac_f16_e64 v48, v156, v18
	s_wait_loadcnt 0x13
	v_lshrrev_b32_e32 v18, 16, v19
	v_mul_f16_e32 v41, v92, v19
	v_pack_b32_f16 v14, v15, v14
	v_pack_b32_f16 v15, v42, v16
	v_pack_b32_f16 v16, v48, v17
	v_mul_f16_e32 v17, v92, v18
	v_fma_f16 v18, v87, v18, -v41
	v_pack_b32_f16 v43, v49, v43
	s_wait_loadcnt 0x12
	v_lshrrev_b32_e32 v41, 16, v20
	v_mul_f16_e32 v42, v94, v20
	ds_store_b32 v111, v9 offset:864
	ds_store_b32 v111, v11 offset:1728
	;; [unrolled: 1-line block ×8, first 2 shown]
	v_fmac_f16_e32 v17, v87, v19
	s_clause 0x1
	scratch_store_b32 off, v87, off offset:136
	scratch_store_b32 off, v88, off offset:140
	v_mul_f16_e32 v9, v94, v41
	v_fma_f16 v13, v90, v41, -v42
	v_pack_b32_f16 v14, v17, v18
	s_clause 0x1
	scratch_store_b32 off, v90, off offset:148
	scratch_store_b32 off, v91, off offset:152
	s_wait_loadcnt 0x11
	v_lshrrev_b32_e32 v11, 16, v21
	v_mul_f16_e32 v12, v89, v21
	v_fmac_f16_e32 v9, v90, v20
	s_wait_loadcnt 0x10
	v_mul_f16_e32 v16, v93, v22
	ds_store_b32 v111, v14 offset:7776
	v_mul_f16_e32 v15, v89, v11
	v_fma_f16 v11, v83, v11, -v12
	v_lshrrev_b32_e32 v12, 16, v22
	v_pack_b32_f16 v9, v9, v13
	s_clause 0x1
	scratch_store_b32 off, v94, off offset:168
	scratch_store_b32 off, v93, off offset:164
	v_fmac_f16_e32 v15, v83, v21
	v_mul_f16_e32 v13, v93, v12
	s_wait_loadcnt 0xf
	v_lshrrev_b32_e32 v14, 16, v23
	v_fma_f16 v12, v88, v12, -v16
	v_mul_f16_e32 v16, v85, v23
	ds_store_2addr_b32 v111, v10, v9 offset1:60
	v_pack_b32_f16 v9, v15, v11
	v_fmac_f16_e32 v13, v88, v22
	v_mul_f16_e32 v10, v85, v14
	s_wait_loadcnt 0xe
	v_lshrrev_b32_e32 v11, 16, v24
	v_fma_f16 v14, v79, v14, -v16
	v_mul_f16_e32 v15, v91, v24
	v_pack_b32_f16 v12, v13, v12
	v_fmac_f16_e32 v10, v79, v23
	v_mul_f16_e32 v13, v91, v11
	s_wait_loadcnt 0xd
	v_lshrrev_b32_e32 v16, 16, v25
	v_fma_f16 v11, v84, v11, -v15
	v_mul_f16_e32 v15, v80, v25
	v_pack_b32_f16 v10, v10, v14
	v_fmac_f16_e32 v13, v84, v24
	v_mul_f16_e32 v14, v80, v16
	s_wait_loadcnt 0xc
	v_lshrrev_b32_e32 v17, 16, v26
	v_mul_f16_e32 v18, v86, v26
	v_fma_f16 v15, v74, v16, -v15
	v_pack_b32_f16 v11, v13, v11
	v_fmac_f16_e32 v14, v74, v25
	v_mul_f16_e32 v13, v86, v17
	v_fma_f16 v16, v81, v17, -v18
	s_wait_loadcnt 0xb
	v_lshrrev_b32_e32 v17, 16, v27
	v_mul_f16_e32 v18, v77, v27
	ds_store_2addr_b32 v4, v10, v44 offset0:68 offset1:128
	v_pack_b32_f16 v10, v14, v15
	v_fmac_f16_e32 v13, v81, v26
	s_wait_loadcnt 0xa
	v_lshrrev_b32_e32 v15, 16, v28
	v_mul_f16_e32 v14, v77, v17
	v_fma_f16 v17, v67, v17, -v18
	v_mul_f16_e32 v18, v82, v28
	v_pack_b32_f16 v13, v13, v16
	v_mul_f16_e32 v16, v82, v15
	v_fmac_f16_e32 v14, v67, v27
	s_wait_loadcnt 0x9
	v_lshrrev_b32_e32 v19, 16, v29
	v_mul_f16_e32 v20, v71, v29
	v_fma_f16 v15, v76, v15, -v18
	v_fmac_f16_e32 v16, v76, v28
	v_pack_b32_f16 v14, v14, v17
	v_mul_f16_e32 v17, v71, v19
	v_fma_f16 v18, v60, v19, -v20
	s_wait_loadcnt 0x8
	v_lshrrev_b32_e32 v19, 16, v30
	v_mul_f16_e32 v20, v78, v30
	v_pack_b32_f16 v15, v16, v15
	s_wait_loadcnt 0x7
	v_lshrrev_b32_e32 v16, 16, v31
	v_mul_f16_e32 v22, v75, v31
	v_mul_f16_e32 v21, v78, v19
	v_fma_f16 v19, v66, v19, -v20
	s_wait_loadcnt 0x6
	v_lshrrev_b32_e32 v23, 16, v32
	v_mul_f16_e32 v20, v75, v16
	v_fmac_f16_e32 v17, v60, v29
	v_fmac_f16_e32 v21, v66, v30
	v_fma_f16 v16, v65, v16, -v22
	v_mul_f16_e32 v22, v73, v32
	v_fmac_f16_e32 v20, v65, v31
	v_mul_f16_e32 v24, v73, v23
	v_pack_b32_f16 v17, v17, v18
	v_pack_b32_f16 v18, v21, v19
	v_fma_f16 v19, v63, v23, -v22
	v_pack_b32_f16 v16, v20, v16
	s_wait_loadcnt 0x5
	v_lshrrev_b32_e32 v20, 16, v33
	v_fmac_f16_e32 v24, v63, v32
	ds_store_b32 v111, v18 offset:480
	v_mul_f16_e32 v18, v64, v33
	ds_store_2addr_b32 v3, v9, v16 offset0:20 offset1:80
	v_mul_f16_e32 v16, v64, v20
	v_pack_b32_f16 v9, v24, v19
	s_wait_loadcnt 0x4
	v_lshrrev_b32_e32 v19, 16, v34
	v_fma_f16 v18, v58, v20, -v18
	v_mul_f16_e32 v20, v61, v34
	v_fmac_f16_e32 v16, v58, v33
	ds_store_2addr_b32 v39, v12, v9 offset0:108 offset1:168
	v_mul_f16_e32 v9, v61, v19
	s_wait_loadcnt 0x3
	v_lshrrev_b32_e32 v12, 16, v35
	v_mul_f16_e32 v21, v59, v35
	v_pack_b32_f16 v16, v16, v18
	v_fma_f16 v19, v57, v19, -v20
	v_fmac_f16_e32 v9, v57, v34
	s_wait_loadcnt 0x2
	v_lshrrev_b32_e32 v20, 16, v36
	v_mul_f16_e32 v18, v59, v12
	v_fma_f16 v12, v56, v12, -v21
	v_mul_f16_e32 v21, v55, v36
	ds_store_2addr_b32 v8, v11, v16 offset0:156 offset1:216
	s_wait_loadcnt 0x1
	v_lshrrev_b32_e32 v11, 16, v37
	v_pack_b32_f16 v9, v9, v19
	s_wait_loadcnt 0x0
	v_lshrrev_b32_e32 v19, 16, v38
	v_mul_f16_e32 v16, v55, v20
	v_fma_f16 v20, v54, v20, -v21
	v_mul_f16_e32 v21, v53, v37
	v_mul_f16_e32 v22, v53, v11
	;; [unrolled: 1-line block ×4, first 2 shown]
	v_fmac_f16_e32 v18, v56, v35
	v_fmac_f16_e32 v16, v54, v36
	v_fma_f16 v11, v52, v11, -v21
	v_fmac_f16_e32 v22, v52, v37
	v_fma_f16 v19, v50, v19, -v23
	v_fmac_f16_e32 v24, v50, v38
	ds_store_2addr_b32 v5, v10, v9 offset0:116 offset1:176
	v_pack_b32_f16 v10, v18, v12
	v_add_nc_u32_e32 v9, 0x1e00, v111
	v_pack_b32_f16 v12, v16, v20
	v_pack_b32_f16 v11, v22, v11
	;; [unrolled: 1-line block ×3, first 2 shown]
	s_clause 0x1f
	scratch_store_b32 off, v89, off offset:144
	scratch_store_b32 off, v79, off offset:104
	;; [unrolled: 1-line block ×32, first 2 shown]
	scratch_store_b32 off, v50, off         ; 4-byte Folded Spill
	ds_store_2addr_b32 v7, v13, v10 offset0:76 offset1:136
	ds_store_2addr_b32 v6, v14, v12 offset0:36 offset1:96
	;; [unrolled: 1-line block ×4, first 2 shown]
	s_and_saveexec_b32 s6, vcc_lo
	s_cbranch_execz .LBB0_3
; %bb.2:
	v_add_co_u32 v0, s2, v0, s2
	s_wait_alu 0xf1ff
	v_add_co_ci_u32_e64 v1, s2, s3, v1, s2
	v_add_nc_u32_e32 v29, 0x1700, v111
	s_delay_alu instid0(VALU_DEP_3) | instskip(SKIP_1) | instid1(VALU_DEP_3)
	v_add_co_u32 v10, s2, v0, s16
	s_wait_alu 0xf1ff
	v_add_co_ci_u32_e64 v11, s2, s17, v1, s2
	global_load_b32 v2, v[0:1], off
	global_load_b32 v12, v[10:11], off
	s_clause 0x8
	global_load_b32 v13, v[68:69], off offset:720
	global_load_b32 v14, v[68:69], off offset:1584
	;; [unrolled: 1-line block ×9, first 2 shown]
	v_add_co_u32 v0, s2, v10, s16
	s_wait_alu 0xf1ff
	v_add_co_ci_u32_e64 v1, s2, s17, v11, s2
	global_load_b32 v22, v[68:69], off offset:8496
	v_add_co_u32 v10, s2, v0, s16
	s_wait_alu 0xf1ff
	v_add_co_ci_u32_e64 v11, s2, s17, v1, s2
	global_load_b32 v23, v[0:1], off
	global_load_b32 v24, v[10:11], off
	v_add_co_u32 v0, s2, v10, s16
	s_wait_alu 0xf1ff
	v_add_co_ci_u32_e64 v1, s2, s17, v11, s2
	s_delay_alu instid0(VALU_DEP_2) | instskip(SKIP_1) | instid1(VALU_DEP_2)
	v_add_co_u32 v10, s2, v0, s16
	s_wait_alu 0xf1ff
	v_add_co_ci_u32_e64 v11, s2, s17, v1, s2
	global_load_b32 v25, v[0:1], off
	v_add_co_u32 v0, s2, v10, s16
	s_wait_alu 0xf1ff
	v_add_co_ci_u32_e64 v1, s2, s17, v11, s2
	global_load_b32 v26, v[10:11], off
	;; [unrolled: 4-line block ×5, first 2 shown]
	global_load_b32 v1, v[10:11], off
	v_add_nc_u32_e32 v10, 0x280, v111
	v_add_nc_u32_e32 v11, 0x900, v111
	s_wait_loadcnt 0x13
	v_lshrrev_b32_e32 v36, 16, v2
	s_wait_loadcnt 0x12
	v_lshrrev_b32_e32 v41, 16, v12
	;; [unrolled: 2-line block ×7, first 2 shown]
	v_mul_f16_e32 v40, v30, v2
	v_mul_f16_e32 v30, v30, v36
	;; [unrolled: 1-line block ×3, first 2 shown]
	s_wait_loadcnt 0xc
	v_lshrrev_b32_e32 v35, 16, v18
	s_wait_loadcnt 0xb
	v_lshrrev_b32_e32 v37, 16, v19
	v_fma_f16 v36, v13, v36, -v40
	v_fmac_f16_e32 v30, v13, v2
	v_mul_f16_e32 v2, v31, v41
	v_fma_f16 v31, v14, v41, -v43
	s_wait_loadcnt 0xa
	v_lshrrev_b32_e32 v38, 16, v20
	s_wait_loadcnt 0x9
	v_lshrrev_b32_e32 v39, 16, v21
	;; [unrolled: 2-line block ×3, first 2 shown]
	v_fmac_f16_e32 v2, v14, v12
	v_pack_b32_f16 v30, v30, v36
	s_wait_loadcnt 0x7
	v_lshrrev_b32_e32 v13, 16, v23
	v_mul_f16_e32 v40, v32, v23
	s_wait_loadcnt 0x6
	v_lshrrev_b32_e32 v14, 16, v24
	v_pack_b32_f16 v2, v2, v31
	v_mul_f16_e32 v12, v32, v13
	v_fma_f16 v13, v15, v13, -v40
	v_mul_f16_e32 v32, v33, v24
	s_delay_alu instid0(VALU_DEP_3)
	v_fmac_f16_e32 v12, v15, v23
	v_mul_f16_e32 v15, v33, v14
	s_wait_loadcnt 0x5
	v_lshrrev_b32_e32 v23, 16, v25
	v_mul_f16_e32 v31, v34, v25
	v_fma_f16 v14, v16, v14, -v32
	v_pack_b32_f16 v12, v12, v13
	v_fmac_f16_e32 v15, v16, v24
	v_mul_f16_e32 v13, v34, v23
	v_fma_f16 v16, v17, v23, -v31
	s_wait_loadcnt 0x4
	v_lshrrev_b32_e32 v23, 16, v26
	v_mul_f16_e32 v24, v35, v26
	v_pack_b32_f16 v14, v15, v14
	v_fmac_f16_e32 v13, v17, v25
	s_wait_loadcnt 0x3
	v_lshrrev_b32_e32 v15, 16, v27
	v_mul_f16_e32 v17, v35, v23
	v_fma_f16 v23, v18, v23, -v24
	v_mul_f16_e32 v24, v37, v27
	v_pack_b32_f16 v13, v13, v16
	v_mul_f16_e32 v16, v37, v15
	v_fmac_f16_e32 v17, v18, v26
	s_wait_loadcnt 0x2
	v_lshrrev_b32_e32 v18, 16, v28
	v_fma_f16 v15, v19, v15, -v24
	v_mul_f16_e32 v24, v38, v28
	v_fmac_f16_e32 v16, v19, v27
	s_wait_loadcnt 0x1
	v_lshrrev_b32_e32 v19, 16, v0
	s_wait_loadcnt 0x0
	v_lshrrev_b32_e32 v26, 16, v1
	v_mul_f16_e32 v25, v38, v18
	v_fma_f16 v18, v20, v18, -v24
	v_mul_f16_e32 v24, v39, v0
	v_mul_f16_e32 v27, v39, v19
	;; [unrolled: 1-line block ×4, first 2 shown]
	v_fmac_f16_e32 v25, v20, v28
	v_fma_f16 v19, v21, v19, -v24
	v_fmac_f16_e32 v27, v21, v0
	v_fma_f16 v0, v22, v26, -v31
	v_fmac_f16_e32 v32, v22, v1
	v_pack_b32_f16 v1, v17, v23
	v_pack_b32_f16 v15, v16, v15
	v_pack_b32_f16 v16, v25, v18
	v_pack_b32_f16 v17, v27, v19
	v_pack_b32_f16 v0, v32, v0
	v_add_nc_u32_e32 v18, 0x1d80, v111
	ds_store_2addr_b32 v10, v30, v2 offset0:20 offset1:236
	ds_store_2addr_b32 v11, v12, v14 offset0:36 offset1:252
	;; [unrolled: 1-line block ×5, first 2 shown]
.LBB0_3:
	s_wait_alu 0xfffe
	s_or_b32 exec_lo, exec_lo, s6
	v_add_nc_u32_e32 v0, 0x800, v111
	v_add_nc_u32_e32 v1, 0xe00, v111
	global_wb scope:SCOPE_SE
	s_wait_storecnt_dscnt 0x0
	s_wait_kmcnt 0x0
	s_barrier_signal -1
	s_barrier_wait -1
	global_inv scope:SCOPE_SE
	ds_load_2addr_b32 v[38:39], v111 offset1:60
	ds_load_2addr_b32 v[34:35], v111 offset0:120 offset1:216
	ds_load_2addr_b32 v[36:37], v3 offset0:176 offset1:236
	;; [unrolled: 1-line block ×4, first 2 shown]
	v_add_nc_u32_e32 v0, 0x1c00, v111
	ds_load_2addr_b32 v[16:17], v1 offset0:88 offset1:184
	ds_load_2addr_b32 v[26:27], v7 offset0:16 offset1:76
	;; [unrolled: 1-line block ×10, first 2 shown]
	s_load_b64 s[0:1], s[0:1], 0x8
                                        ; implicit-def: $vgpr6
                                        ; implicit-def: $vgpr8
                                        ; implicit-def: $vgpr4
                                        ; implicit-def: $vgpr2
                                        ; implicit-def: $vgpr0
	s_and_saveexec_b32 s2, vcc_lo
	s_cbranch_execz .LBB0_5
; %bb.4:
	v_add_nc_u32_e32 v0, 0x280, v111
	v_add_nc_u32_e32 v1, 0x900, v111
	;; [unrolled: 1-line block ×5, first 2 shown]
	ds_load_2addr_b32 v[6:7], v0 offset0:20 offset1:236
	ds_load_2addr_b32 v[8:9], v1 offset0:36 offset1:252
	;; [unrolled: 1-line block ×5, first 2 shown]
.LBB0_5:
	s_wait_alu 0xfffe
	s_or_b32 exec_lo, exec_lo, s2
	s_wait_dscnt 0x8
	v_add_f16_e32 v40, v24, v26
	v_lshrrev_b32_e32 v42, 16, v36
	s_wait_dscnt 0x6
	v_lshrrev_b32_e32 v43, 16, v22
	v_lshrrev_b32_e32 v44, 16, v24
	v_lshrrev_b32_e32 v46, 16, v26
	v_fma_f16 v47, -0.5, v40, v38
	v_sub_f16_e32 v50, v22, v26
	v_sub_f16_e32 v45, v42, v43
	;; [unrolled: 1-line block ×4, first 2 shown]
	v_add_f16_e32 v52, v36, v22
	v_lshrrev_b32_e32 v55, 16, v38
	v_fmamk_f16 v48, v45, 0x3b9c, v47
	v_fmac_f16_e32 v47, 0xbb9c, v45
	v_add_f16_e32 v50, v51, v50
	v_fma_f16 v51, -0.5, v52, v38
	v_add_f16_e32 v52, v44, v46
	v_fmac_f16_e32 v48, 0x38b4, v49
	v_fmac_f16_e32 v47, 0xb8b4, v49
	v_pk_add_f16 v38, v38, v36
	v_fmamk_f16 v56, v49, 0xbb9c, v51
	v_fma_f16 v57, -0.5, v52, v55
	v_fmac_f16_e32 v48, 0x34f2, v50
	v_fmac_f16_e32 v47, 0x34f2, v50
	v_sub_f16_e32 v50, v36, v22
	v_sub_f16_e32 v52, v26, v22
	v_sub_f16_e32 v36, v24, v36
	v_fmac_f16_e32 v51, 0x3b9c, v49
	v_fmac_f16_e32 v56, 0x38b4, v45
	v_sub_f16_e32 v53, v24, v26
	v_sub_f16_e32 v54, v42, v44
	v_add_f16_e32 v36, v36, v52
	v_add_f16_e32 v52, v42, v43
	v_fmac_f16_e32 v51, 0xb8b4, v45
	v_sub_f16_e32 v58, v43, v46
	v_fmamk_f16 v49, v50, 0xbb9c, v57
	v_fmac_f16_e32 v56, 0x34f2, v36
	v_fmac_f16_e32 v55, -0.5, v52
	v_fmac_f16_e32 v51, 0x34f2, v36
	v_add_f16_e32 v36, v17, v13
	v_add_f16_e32 v45, v54, v58
	v_fmac_f16_e32 v57, 0x3b9c, v50
	v_fmamk_f16 v58, v53, 0x3b9c, v55
	v_sub_f16_e32 v42, v44, v42
	v_fma_f16 v44, -0.5, v36, v35
	v_sub_f16_e32 v36, v46, v43
	v_fmac_f16_e32 v55, 0xbb9c, v53
	v_fmac_f16_e32 v49, 0xb8b4, v53
	;; [unrolled: 1-line block ×3, first 2 shown]
	v_lshrrev_b32_e32 v52, 16, v33
	s_wait_dscnt 0x5
	v_lshrrev_b32_e32 v54, 16, v11
	v_fmac_f16_e32 v58, 0xb8b4, v50
	v_lshrrev_b32_e32 v59, 16, v17
	v_lshrrev_b32_e32 v60, 16, v13
	v_add_f16_e32 v43, v33, v11
	v_add_f16_e32 v36, v42, v36
	v_fmac_f16_e32 v55, 0x38b4, v50
	v_fmac_f16_e32 v49, 0x34f2, v45
	;; [unrolled: 1-line block ×3, first 2 shown]
	v_sub_f16_e32 v45, v52, v54
	v_sub_f16_e32 v53, v59, v60
	;; [unrolled: 1-line block ×4, first 2 shown]
	v_fma_f16 v63, -0.5, v43, v35
	v_fmac_f16_e32 v58, 0x34f2, v36
	v_fmac_f16_e32 v55, 0x34f2, v36
	v_pk_add_f16 v36, v35, v33
	v_add_f16_e32 v43, v59, v60
	v_lshrrev_b32_e32 v35, 16, v35
	v_add_f16_e32 v64, v52, v54
	v_fmamk_f16 v46, v45, 0x3b9c, v44
	v_add_f16_e32 v42, v62, v61
	v_fmamk_f16 v50, v53, 0xbb9c, v63
	v_sub_f16_e32 v61, v13, v11
	v_sub_f16_e32 v62, v17, v33
	v_fmac_f16_e32 v63, 0x3b9c, v53
	v_fma_f16 v65, -0.5, v43, v35
	v_sub_f16_e32 v33, v33, v11
	v_sub_f16_e32 v43, v17, v13
	v_fmac_f16_e32 v35, -0.5, v64
	v_fmac_f16_e32 v46, 0x38b4, v53
	v_fmac_f16_e32 v44, 0xbb9c, v45
	;; [unrolled: 1-line block ×3, first 2 shown]
	v_add_f16_e32 v61, v62, v61
	v_fmac_f16_e32 v63, 0xb8b4, v45
	v_fmamk_f16 v62, v33, 0xbb9c, v65
	v_sub_f16_e32 v45, v52, v59
	v_fmamk_f16 v64, v43, 0x3b9c, v35
	v_sub_f16_e32 v52, v59, v52
	v_sub_f16_e32 v59, v60, v54
	;; [unrolled: 1-line block ×3, first 2 shown]
	v_fmac_f16_e32 v35, 0xbb9c, v43
	v_fmac_f16_e32 v65, 0x3b9c, v33
	;; [unrolled: 1-line block ×5, first 2 shown]
	v_add_f16_e32 v52, v52, v59
	v_add_f16_e32 v45, v45, v54
	v_fmac_f16_e32 v35, 0x38b4, v33
	v_fmac_f16_e32 v63, 0x34f2, v61
	;; [unrolled: 1-line block ×8, first 2 shown]
	v_mul_f16_e32 v59, 0x3a79, v46
	v_mul_f16_e32 v33, 0x34f2, v63
	v_fmac_f16_e32 v44, 0x34f2, v42
	v_fmac_f16_e32 v65, 0x34f2, v45
	v_mul_f16_e32 v60, 0x3b9c, v64
	v_fmac_f16_e32 v59, 0x38b4, v62
	v_fma_f16 v61, v35, 0x3b9c, -v33
	v_mul_f16_e32 v33, 0x3a79, v44
	v_mul_f16_e32 v67, 0xb8b4, v46
	;; [unrolled: 1-line block ×5, first 2 shown]
	v_fmac_f16_e32 v60, 0x34f2, v50
	v_add_f16_e32 v43, v48, v59
	v_fma_f16 v50, v65, 0x38b4, -v33
	v_fmac_f16_e32 v67, 0x3a79, v62
	v_fmac_f16_e32 v71, 0x34f2, v64
	v_fma_f16 v62, v63, 0xbb9c, -v35
	v_fma_f16 v63, v44, 0xb8b4, -v46
	v_sub_f16_e32 v44, v48, v59
	v_add_f16_e32 v59, v25, v27
	v_lshrrev_b32_e32 v64, 16, v37
	v_lshrrev_b32_e32 v65, 16, v23
	v_add_f16_e32 v42, v56, v60
	v_sub_f16_e32 v48, v56, v60
	v_fma_f16 v72, -0.5, v59, v39
	v_lshrrev_b32_e32 v59, 16, v25
	v_sub_f16_e32 v56, v64, v65
	v_lshrrev_b32_e32 v60, 16, v27
	v_add_f16_e32 v45, v51, v61
	v_add_f16_e32 v33, v47, v50
	;; [unrolled: 1-line block ×5, first 2 shown]
	v_sub_f16_e32 v46, v51, v61
	v_sub_f16_e32 v47, v47, v50
	;; [unrolled: 1-line block ×5, first 2 shown]
	v_fmamk_f16 v58, v56, 0x3b9c, v72
	v_sub_f16_e32 v61, v59, v60
	v_sub_f16_e32 v62, v23, v27
	;; [unrolled: 1-line block ×3, first 2 shown]
	v_add_f16_e32 v71, v37, v23
	v_fmac_f16_e32 v72, 0xbb9c, v56
	v_add_f16_e32 v35, v57, v63
	v_sub_f16_e32 v55, v57, v63
	v_fmac_f16_e32 v58, 0x38b4, v61
	v_add_f16_e32 v57, v67, v62
	v_fma_f16 v62, -0.5, v71, v39
	v_fmac_f16_e32 v72, 0xb8b4, v61
	v_add_f16_e32 v63, v59, v60
	v_lshrrev_b32_e32 v71, 16, v39
	v_pk_add_f16 v39, v39, v37
	v_fmamk_f16 v67, v61, 0xbb9c, v62
	v_fmac_f16_e32 v58, 0x34f2, v57
	v_fmac_f16_e32 v72, 0x34f2, v57
	v_fma_f16 v73, -0.5, v63, v71
	v_sub_f16_e32 v57, v37, v23
	v_sub_f16_e32 v63, v27, v23
	;; [unrolled: 1-line block ×3, first 2 shown]
	v_fmac_f16_e32 v62, 0x3b9c, v61
	v_fmac_f16_e32 v67, 0x38b4, v56
	v_fmamk_f16 v74, v57, 0xbb9c, v73
	v_sub_f16_e32 v61, v25, v27
	v_sub_f16_e32 v75, v64, v59
	;; [unrolled: 1-line block ×3, first 2 shown]
	v_add_f16_e32 v37, v37, v63
	v_add_f16_e32 v63, v64, v65
	v_fmac_f16_e32 v62, 0xb8b4, v56
	v_fmac_f16_e32 v73, 0x3b9c, v57
	;; [unrolled: 1-line block ×3, first 2 shown]
	v_add_f16_e32 v56, v75, v76
	v_fmac_f16_e32 v71, -0.5, v63
	v_fmac_f16_e32 v67, 0x34f2, v37
	v_fmac_f16_e32 v62, 0x34f2, v37
	;; [unrolled: 1-line block ×3, first 2 shown]
	s_wait_dscnt 0x1
	v_add_f16_e32 v37, v20, v18
	v_fmac_f16_e32 v74, 0x34f2, v56
	v_fmamk_f16 v77, v61, 0x3b9c, v71
	v_fmac_f16_e32 v71, 0xbb9c, v61
	v_fmac_f16_e32 v73, 0x34f2, v56
	v_sub_f16_e32 v56, v59, v64
	v_fma_f16 v64, -0.5, v37, v30
	v_sub_f16_e32 v37, v60, v65
	v_lshrrev_b32_e32 v63, 16, v28
	s_wait_dscnt 0x0
	v_lshrrev_b32_e32 v75, 16, v14
	v_fmac_f16_e32 v77, 0xb8b4, v57
	v_lshrrev_b32_e32 v76, 16, v20
	v_lshrrev_b32_e32 v78, 16, v18
	v_add_f16_e32 v60, v28, v14
	v_add_f16_e32 v37, v56, v37
	v_fmac_f16_e32 v71, 0x38b4, v57
	v_sub_f16_e32 v79, v14, v18
	v_sub_f16_e32 v65, v76, v78
	;; [unrolled: 1-line block ×3, first 2 shown]
	v_fma_f16 v56, -0.5, v60, v30
	v_fmac_f16_e32 v77, 0x34f2, v37
	v_fmac_f16_e32 v71, 0x34f2, v37
	v_pk_add_f16 v37, v30, v28
	v_add_f16_e32 v60, v76, v78
	v_lshrrev_b32_e32 v30, 16, v30
	v_add_f16_e32 v82, v63, v75
	v_sub_f16_e32 v59, v63, v75
	v_add_f16_e32 v57, v80, v79
	v_fmamk_f16 v79, v65, 0xbb9c, v56
	v_fmac_f16_e32 v56, 0x3b9c, v65
	v_fma_f16 v83, -0.5, v60, v30
	v_sub_f16_e32 v60, v20, v18
	v_fmac_f16_e32 v30, -0.5, v82
	v_fmamk_f16 v61, v59, 0x3b9c, v64
	v_fmac_f16_e32 v64, 0xbb9c, v59
	v_fmac_f16_e32 v79, 0x38b4, v59
	v_sub_f16_e32 v80, v18, v14
	v_sub_f16_e32 v81, v20, v28
	;; [unrolled: 1-line block ×3, first 2 shown]
	v_fmac_f16_e32 v56, 0xb8b4, v59
	v_sub_f16_e32 v59, v63, v76
	v_fmamk_f16 v82, v60, 0x3b9c, v30
	v_sub_f16_e32 v63, v76, v63
	v_sub_f16_e32 v76, v78, v75
	v_add_f16_e32 v80, v81, v80
	v_fmamk_f16 v81, v28, 0xbb9c, v83
	v_sub_f16_e32 v75, v75, v78
	v_fmac_f16_e32 v82, 0xb8b4, v28
	v_add_f16_e32 v63, v63, v76
	v_fmac_f16_e32 v83, 0x3b9c, v28
	v_fmac_f16_e32 v61, 0x38b4, v65
	;; [unrolled: 1-line block ×3, first 2 shown]
	v_add_f16_e32 v59, v59, v75
	v_fmac_f16_e32 v82, 0x34f2, v63
	v_fmac_f16_e32 v64, 0xb8b4, v65
	;; [unrolled: 1-line block ×8, first 2 shown]
	v_mul_f16_e32 v78, 0x3b9c, v82
	v_fmac_f16_e32 v64, 0x34f2, v57
	v_fmac_f16_e32 v83, 0x34f2, v59
	;; [unrolled: 1-line block ×4, first 2 shown]
	v_mul_f16_e32 v63, 0x3a79, v61
	v_mul_f16_e32 v28, 0x34f2, v56
	v_fmac_f16_e32 v78, 0x34f2, v79
	v_mul_f16_e32 v57, 0x3a79, v64
	v_mul_f16_e32 v80, 0xb8b4, v61
	;; [unrolled: 1-line block ×4, first 2 shown]
	v_fmac_f16_e32 v63, 0x38b4, v81
	v_fma_f16 v65, v30, 0x3b9c, -v28
	v_mul_f16_e32 v30, 0x34f2, v30
	v_fma_f16 v83, v83, 0x38b4, -v57
	v_fmac_f16_e32 v79, 0x34f2, v82
	v_fma_f16 v82, v64, 0xb8b4, -v61
	v_add_f16_e32 v64, v16, v12
	v_lshrrev_b32_e32 v84, 16, v32
	v_lshrrev_b32_e32 v85, 16, v10
	v_add_f16_e32 v59, v58, v63
	v_add_f16_e32 v28, v67, v78
	;; [unrolled: 1-line block ×3, first 2 shown]
	v_fmac_f16_e32 v80, 0x3a79, v81
	v_fma_f16 v81, v56, 0xbb9c, -v30
	v_add_f16_e32 v30, v72, v83
	v_sub_f16_e32 v58, v58, v63
	v_sub_f16_e32 v63, v67, v78
	;; [unrolled: 1-line block ×4, first 2 shown]
	v_fma_f16 v72, -0.5, v64, v34
	v_sub_f16_e32 v78, v84, v85
	v_lshrrev_b32_e32 v83, 16, v16
	v_lshrrev_b32_e32 v86, 16, v12
	v_add_f16_e32 v75, v74, v80
	v_add_f16_e32 v57, v77, v79
	;; [unrolled: 1-line block ×3, first 2 shown]
	v_sub_f16_e32 v67, v74, v80
	v_sub_f16_e32 v65, v77, v79
	;; [unrolled: 1-line block ×3, first 2 shown]
	v_fmamk_f16 v71, v78, 0x3b9c, v72
	v_sub_f16_e32 v74, v83, v86
	v_sub_f16_e32 v79, v10, v12
	;; [unrolled: 1-line block ×3, first 2 shown]
	v_add_f16_e32 v81, v32, v10
	v_fmac_f16_e32 v72, 0xbb9c, v78
	v_add_f16_e32 v56, v73, v82
	v_sub_f16_e32 v77, v73, v82
	v_fmac_f16_e32 v71, 0x38b4, v74
	v_add_f16_e32 v73, v80, v79
	v_fma_f16 v79, -0.5, v81, v34
	v_fmac_f16_e32 v72, 0xb8b4, v74
	v_add_f16_e32 v80, v83, v86
	v_lshrrev_b32_e32 v81, 16, v34
	v_pk_add_f16 v34, v34, v32
	v_fmac_f16_e32 v71, 0x34f2, v73
	v_fmac_f16_e32 v72, 0x34f2, v73
	v_sub_f16_e32 v87, v12, v10
	v_fma_f16 v73, -0.5, v80, v81
	v_sub_f16_e32 v80, v32, v10
	v_sub_f16_e32 v32, v16, v32
	v_fmamk_f16 v82, v74, 0xbb9c, v79
	v_fmac_f16_e32 v79, 0x3b9c, v74
	v_sub_f16_e32 v88, v16, v12
	v_fmamk_f16 v74, v80, 0xbb9c, v73
	v_sub_f16_e32 v89, v84, v83
	v_sub_f16_e32 v90, v85, v86
	v_add_f16_e32 v32, v32, v87
	v_add_f16_e32 v87, v84, v85
	v_fmac_f16_e32 v73, 0x3b9c, v80
	v_fmac_f16_e32 v82, 0x38b4, v78
	;; [unrolled: 1-line block ×4, first 2 shown]
	v_add_f16_e32 v78, v89, v90
	v_fmac_f16_e32 v81, -0.5, v87
	v_fmac_f16_e32 v73, 0x38b4, v88
	v_fmac_f16_e32 v82, 0x34f2, v32
	;; [unrolled: 1-line block ×4, first 2 shown]
	v_fmamk_f16 v32, v88, 0x3b9c, v81
	v_add_f16_e32 v87, v21, v19
	v_fmac_f16_e32 v73, 0x34f2, v78
	v_sub_f16_e32 v78, v83, v84
	v_sub_f16_e32 v85, v86, v85
	v_fmac_f16_e32 v81, 0xbb9c, v88
	v_lshrrev_b32_e32 v89, 16, v29
	v_lshrrev_b32_e32 v90, 16, v15
	v_fmac_f16_e32 v32, 0xb8b4, v80
	v_fma_f16 v83, -0.5, v87, v31
	v_lshrrev_b32_e32 v87, 16, v21
	v_lshrrev_b32_e32 v91, 16, v19
	v_add_f16_e32 v88, v29, v15
	v_sub_f16_e32 v93, v15, v19
	v_sub_f16_e32 v94, v29, v21
	v_add_f16_e32 v78, v78, v85
	v_fmac_f16_e32 v81, 0x38b4, v80
	v_fma_f16 v85, -0.5, v88, v31
	v_add_f16_e32 v96, v89, v90
	v_add_f16_e32 v80, v94, v93
	v_fmac_f16_e32 v32, 0x34f2, v78
	v_fmac_f16_e32 v81, 0x34f2, v78
	v_pk_add_f16 v93, v31, v29
	v_add_f16_e32 v78, v87, v91
	v_lshrrev_b32_e32 v31, 16, v31
	v_sub_f16_e32 v94, v19, v15
	v_sub_f16_e32 v95, v21, v29
	;; [unrolled: 1-line block ×4, first 2 shown]
	v_fma_f16 v78, -0.5, v78, v31
	v_fmac_f16_e32 v31, -0.5, v96
	v_sub_f16_e32 v92, v87, v91
	v_sub_f16_e32 v29, v29, v15
	v_add_f16_e32 v94, v95, v94
	v_sub_f16_e32 v95, v89, v87
	v_fmamk_f16 v96, v97, 0x3b9c, v31
	v_sub_f16_e32 v87, v87, v89
	v_sub_f16_e32 v89, v91, v90
	v_fmamk_f16 v86, v84, 0x3b9c, v83
	v_fmamk_f16 v88, v92, 0xbb9c, v85
	v_fmac_f16_e32 v85, 0x3b9c, v92
	v_fmac_f16_e32 v31, 0xbb9c, v97
	v_fmac_f16_e32 v96, 0xb8b4, v29
	v_add_f16_e32 v87, v87, v89
	v_fmac_f16_e32 v86, 0x38b4, v92
	v_fmac_f16_e32 v83, 0xbb9c, v84
	;; [unrolled: 1-line block ×4, first 2 shown]
	v_fmamk_f16 v84, v29, 0xbb9c, v78
	v_sub_f16_e32 v90, v90, v91
	v_fmac_f16_e32 v31, 0x38b4, v29
	v_fmac_f16_e32 v96, 0x34f2, v87
	;; [unrolled: 1-line block ×4, first 2 shown]
	v_add_f16_e32 v89, v95, v90
	v_fmac_f16_e32 v88, 0x34f2, v94
	v_fmac_f16_e32 v85, 0x34f2, v94
	;; [unrolled: 1-line block ×4, first 2 shown]
	v_mul_f16_e32 v87, 0x3b9c, v96
	v_fmac_f16_e32 v83, 0xb8b4, v92
	v_fmac_f16_e32 v84, 0x34f2, v89
	v_mul_f16_e32 v29, 0x3a79, v86
	v_mul_f16_e32 v90, 0x34f2, v85
	v_fmac_f16_e32 v78, 0x38b4, v97
	v_fmac_f16_e32 v87, 0x34f2, v88
	;; [unrolled: 1-line block ×3, first 2 shown]
	v_mul_f16_e32 v88, 0xbb9c, v88
	v_fmac_f16_e32 v29, 0x38b4, v84
	v_fma_f16 v90, v31, 0x3b9c, -v90
	v_fmac_f16_e32 v78, 0x34f2, v89
	v_mul_f16_e32 v80, 0x3a79, v83
	v_mul_f16_e32 v86, 0xb8b4, v86
	;; [unrolled: 1-line block ×3, first 2 shown]
	v_fmac_f16_e32 v88, 0x34f2, v96
	v_add_f16_e32 v94, v71, v29
	v_add_f16_e32 v95, v82, v87
	v_mul_f16_e32 v89, 0x3a79, v78
	v_fma_f16 v78, v78, 0x38b4, -v80
	v_fmac_f16_e32 v86, 0x3a79, v84
	v_fma_f16 v80, v85, 0xbb9c, -v31
	v_add_f16_e32 v99, v32, v88
	v_sub_f16_e32 v102, v71, v29
	v_add_f16_e32 v29, v4, v2
	v_lshrrev_b32_e32 v71, 16, v8
	v_lshrrev_b32_e32 v84, 16, v0
	v_sub_f16_e32 v103, v82, v87
	v_lshrrev_b32_e32 v85, 16, v4
	v_lshrrev_b32_e32 v87, 16, v2
	v_sub_f16_e32 v107, v32, v88
	v_add_f16_e32 v32, v8, v0
	v_add_f16_e32 v97, v79, v90
	v_fma_f16 v83, v83, 0xb8b4, -v89
	v_add_f16_e32 v96, v72, v78
	v_add_f16_e32 v98, v74, v86
	v_sub_f16_e32 v104, v79, v90
	v_sub_f16_e32 v105, v72, v78
	v_fma_f16 v29, -0.5, v29, v6
	v_sub_f16_e32 v72, v71, v84
	v_sub_f16_e32 v106, v74, v86
	;; [unrolled: 1-line block ×5, first 2 shown]
	v_fma_f16 v32, -0.5, v32, v6
	v_add_f16_e32 v101, v73, v83
	v_fmamk_f16 v31, v72, 0x3b9c, v29
	v_sub_f16_e32 v109, v73, v83
	v_add_f16_e32 v73, v79, v78
	v_fmac_f16_e32 v29, 0xbb9c, v72
	v_fmamk_f16 v78, v74, 0xbb9c, v32
	v_fmac_f16_e32 v32, 0x3b9c, v74
	v_add_f16_e32 v100, v81, v80
	v_sub_f16_e32 v108, v81, v80
	v_fmac_f16_e32 v31, 0x38b4, v74
	v_sub_f16_e32 v79, v2, v0
	v_sub_f16_e32 v81, v4, v8
	v_add_f16_e32 v82, v85, v87
	v_lshrrev_b32_e32 v80, 16, v6
	v_fmac_f16_e32 v29, 0xb8b4, v74
	v_fmac_f16_e32 v78, 0x38b4, v72
	;; [unrolled: 1-line block ×3, first 2 shown]
	v_add_f16_e32 v72, v71, v84
	v_add_f16_e32 v83, v81, v79
	v_fma_f16 v81, -0.5, v82, v80
	v_sub_f16_e32 v74, v8, v0
	v_fmac_f16_e32 v31, 0x34f2, v73
	v_fmac_f16_e32 v29, 0x34f2, v73
	v_sub_f16_e32 v73, v4, v2
	v_sub_f16_e32 v82, v71, v85
	;; [unrolled: 1-line block ×3, first 2 shown]
	v_fmac_f16_e32 v80, -0.5, v72
	v_fmamk_f16 v79, v74, 0xbb9c, v81
	v_fmac_f16_e32 v81, 0x3b9c, v74
	v_sub_f16_e32 v71, v85, v71
	v_add_f16_e32 v72, v82, v86
	v_fmamk_f16 v82, v73, 0x3b9c, v80
	v_sub_f16_e32 v84, v87, v84
	v_fmac_f16_e32 v80, 0xbb9c, v73
	v_sub_f16_e32 v87, v1, v3
	v_sub_f16_e32 v91, v9, v5
	v_fmac_f16_e32 v78, 0x34f2, v83
	v_fmac_f16_e32 v32, 0x34f2, v83
	;; [unrolled: 1-line block ×4, first 2 shown]
	v_add_f16_e32 v83, v5, v3
	v_lshrrev_b32_e32 v86, 16, v9
	v_lshrrev_b32_e32 v88, 16, v1
	v_fmac_f16_e32 v82, 0xb8b4, v74
	v_lshrrev_b32_e32 v89, 16, v5
	v_lshrrev_b32_e32 v90, 16, v3
	v_add_f16_e32 v92, v9, v1
	v_add_f16_e32 v71, v71, v84
	v_fmac_f16_e32 v80, 0x38b4, v74
	v_add_f16_e32 v74, v91, v87
	v_sub_f16_e32 v84, v3, v1
	v_sub_f16_e32 v87, v5, v9
	v_fmac_f16_e32 v79, 0x34f2, v72
	v_fmac_f16_e32 v81, 0x34f2, v72
	v_fma_f16 v72, -0.5, v83, v7
	v_sub_f16_e32 v83, v86, v88
	v_sub_f16_e32 v85, v89, v90
	v_fma_f16 v91, -0.5, v92, v7
	v_add_f16_e32 v92, v89, v90
	v_lshrrev_b32_e32 v110, 16, v7
	v_add_f16_e32 v84, v87, v84
	v_add_f16_e32 v87, v86, v88
	v_fmamk_f16 v73, v83, 0x3b9c, v72
	v_fmac_f16_e32 v82, 0x34f2, v71
	v_fmac_f16_e32 v80, 0x34f2, v71
	;; [unrolled: 1-line block ×3, first 2 shown]
	v_fmamk_f16 v71, v85, 0xbb9c, v91
	v_fmac_f16_e32 v91, 0x3b9c, v85
	v_fma_f16 v92, -0.5, v92, v110
	v_sub_f16_e32 v112, v5, v3
	v_fmac_f16_e32 v110, -0.5, v87
	v_fmac_f16_e32 v73, 0x38b4, v85
	v_fmac_f16_e32 v72, 0xb8b4, v85
	;; [unrolled: 1-line block ×3, first 2 shown]
	v_sub_f16_e32 v85, v9, v1
	v_fmac_f16_e32 v91, 0xb8b4, v83
	v_sub_f16_e32 v83, v86, v89
	v_fmamk_f16 v114, v112, 0x3b9c, v110
	v_sub_f16_e32 v86, v89, v86
	v_sub_f16_e32 v87, v90, v88
	v_fmac_f16_e32 v110, 0xbb9c, v112
	v_fmamk_f16 v113, v85, 0xbb9c, v92
	v_fmac_f16_e32 v114, 0xb8b4, v85
	v_sub_f16_e32 v88, v88, v90
	v_add_f16_e32 v86, v86, v87
	v_fmac_f16_e32 v92, 0x3b9c, v85
	v_fmac_f16_e32 v110, 0x38b4, v85
	v_pk_add_f16 v24, v38, v24
	v_pk_add_f16 v17, v36, v17
	v_fmac_f16_e32 v114, 0x34f2, v86
	v_fmac_f16_e32 v71, 0x34f2, v84
	;; [unrolled: 1-line block ×3, first 2 shown]
	v_add_f16_e32 v87, v83, v88
	v_fmac_f16_e32 v91, 0x34f2, v84
	v_fmac_f16_e32 v92, 0x38b4, v112
	;; [unrolled: 1-line block ×3, first 2 shown]
	v_mul_f16_e32 v84, 0x3b9c, v114
	v_pk_add_f16 v24, v24, v26
	v_pk_add_f16 v13, v17, v13
	v_fmac_f16_e32 v72, 0x34f2, v74
	v_mul_lo_u16 v36, v171, 10
	v_fmac_f16_e32 v113, 0x34f2, v87
	v_fmac_f16_e32 v92, 0x34f2, v87
	;; [unrolled: 1-line block ×3, first 2 shown]
	v_mul_f16_e32 v87, 0xbb9c, v71
	v_mul_f16_e32 v71, 0x34f2, v110
	v_pk_add_f16 v22, v24, v22
	v_pk_add_f16 v11, v13, v11
	v_fmac_f16_e32 v73, 0x34f2, v74
	v_mul_f16_e32 v74, 0x3a79, v72
	v_and_b32_e32 v17, 0xffff, v36
	v_pk_add_f16 v13, v37, v20
	v_mul_f16_e32 v85, 0x34f2, v91
	v_fma_f16 v89, v91, 0xbb9c, -v71
	v_pk_add_f16 v91, v22, v11
	v_pk_add_f16 v26, v22, v11 neg_lo:[0,1] neg_hi:[0,1]
	v_pk_add_f16 v11, v39, v25
	v_mul_f16_e32 v83, 0x3a79, v73
	v_mul_f16_e32 v86, 0xb8b4, v73
	;; [unrolled: 1-line block ×3, first 2 shown]
	v_fma_f16 v88, v92, 0x38b4, -v74
	v_lshlrev_b32_e32 v206, 2, v17
	v_pack_b32_f16 v92, v43, v53
	v_pack_b32_f16 v43, v45, v54
	;; [unrolled: 1-line block ×6, first 2 shown]
	v_pk_add_f16 v13, v13, v18
	v_pack_b32_f16 v18, v47, v55
	v_pack_b32_f16 v17, v46, v49
	v_add_co_u32 v66, s2, v171, 60
	v_pk_add_f16 v11, v11, v27
	global_wb scope:SCOPE_SE
	s_wait_kmcnt 0x0
	s_barrier_signal -1
	s_barrier_wait -1
	global_inv scope:SCOPE_SE
	ds_store_2addr_b64 v206, v[91:92], v[42:43] offset1:1
	ds_store_2addr_b64 v206, v[25:26], v[36:37] offset0:2 offset1:3
	ds_store_b64 v206, v[17:18] offset:32
	v_pk_add_f16 v18, v34, v16
	v_pk_add_f16 v21, v93, v21
	s_wait_alu 0xf1ff
	v_add_co_ci_u32_e64 v40, null, 0, 0, s2
	v_add_co_u32 v40, null, 0x78, v171
	v_mul_u32_u24_e32 v20, 10, v66
	v_pk_add_f16 v11, v11, v23
	v_pk_add_f16 v22, v13, v14
	;; [unrolled: 1-line block ×4, first 2 shown]
	v_add_co_u32 v41, null, 0xb4, v171
	v_fmac_f16_e32 v83, 0x38b4, v113
	v_fma_f16 v85, v110, 0x3b9c, -v85
	v_fmac_f16_e32 v86, 0x3a79, v113
	v_fmac_f16_e32 v87, 0x34f2, v114
	v_fma_f16 v90, v72, 0xb8b4, -v73
	v_lshlrev_b32_e32 v188, 2, v20
	v_pk_add_f16 v13, v11, v22
	v_pack_b32_f16 v14, v59, v75
	v_pack_b32_f16 v17, v60, v76
	;; [unrolled: 1-line block ×3, first 2 shown]
	v_pk_add_f16 v20, v11, v22 neg_lo:[0,1] neg_hi:[0,1]
	v_mul_u32_u24_e32 v22, 10, v40
	v_pack_b32_f16 v11, v58, v67
	v_pack_b32_f16 v12, v63, v65
	;; [unrolled: 1-line block ×3, first 2 shown]
	v_pk_add_f16 v18, v18, v10
	v_pk_add_f16 v21, v21, v15
	v_sub_f16_e32 v73, v31, v83
	v_sub_f16_e32 v74, v78, v84
	;; [unrolled: 1-line block ×4, first 2 shown]
	v_sub_f16_e64 v178, v79, v86
	v_sub_f16_e64 v181, v82, v87
	;; [unrolled: 1-line block ×4, first 2 shown]
	ds_store_2addr_b64 v188, v[13:14], v[16:17] offset1:1
	ds_store_2addr_b64 v188, v[19:20], v[11:12] offset0:2 offset1:3
	v_pack_b32_f16 v11, v62, v77
	v_pack_b32_f16 v10, v61, v64
	v_lshlrev_b32_e32 v191, 2, v22
	v_mul_u32_u24_e32 v22, 10, v41
	v_pk_add_f16 v12, v18, v21
	v_pack_b32_f16 v13, v94, v98
	v_pack_b32_f16 v15, v97, v100
	;; [unrolled: 1-line block ×3, first 2 shown]
	v_pk_add_f16 v17, v18, v21 neg_lo:[0,1] neg_hi:[0,1]
	v_pack_b32_f16 v18, v102, v106
	v_pack_b32_f16 v19, v103, v107
	;; [unrolled: 1-line block ×5, first 2 shown]
	scratch_store_b32 off, v22, off offset:192 ; 4-byte Folded Spill
	ds_store_b64 v188, v[10:11] offset:32
	ds_store_2addr_b64 v191, v[12:13], v[14:15] offset1:1
	ds_store_2addr_b64 v191, v[16:17], v[18:19] offset0:2 offset1:3
	ds_store_b64 v191, v[20:21] offset:32
	s_and_saveexec_b32 s2, vcc_lo
	s_cbranch_execz .LBB0_7
; %bb.6:
	v_pk_add_f16 v6, v6, v8
	v_pk_add_f16 v7, v7, v9
	v_add_f16_e32 v9, v80, v89
	v_add_f16_e32 v11, v31, v83
	;; [unrolled: 1-line block ×3, first 2 shown]
	v_pk_add_f16 v4, v6, v4
	v_pk_add_f16 v5, v7, v5
	v_add_f16_e32 v6, v82, v87
	v_add_f16_e32 v7, v79, v86
	;; [unrolled: 1-line block ×3, first 2 shown]
	v_pk_add_f16 v2, v4, v2
	v_pk_add_f16 v3, v5, v3
	v_add_f16_e32 v4, v32, v85
	v_add_f16_e32 v5, v78, v84
	s_delay_alu instid0(VALU_DEP_4) | instskip(NEXT) | instid1(VALU_DEP_4)
	v_pk_add_f16 v12, v2, v0
	v_pk_add_f16 v13, v3, v1
	v_mul_u32_u24_e32 v0, 10, v41
	v_pack_b32_f16 v1, v4, v9
	v_pack_b32_f16 v3, v11, v7
	v_perm_b32 v7, v181, v74, 0x5040100
	v_pk_add_f16 v2, v12, v13
	v_lshlrev_b32_e32 v14, 2, v0
	v_pack_b32_f16 v0, v5, v6
	v_pk_add_f16 v5, v12, v13 neg_lo:[0,1] neg_hi:[0,1]
	v_perm_b32 v6, v178, v73, 0x5040100
	v_pack_b32_f16 v4, v10, v8
	v_perm_b32 v9, v180, v72, 0x5040100
	v_perm_b32 v8, v179, v71, 0x5040100
	ds_store_2addr_b64 v14, v[2:3], v[0:1] offset1:1
	ds_store_2addr_b64 v14, v[4:5], v[6:7] offset0:2 offset1:3
	ds_store_b64 v14, v[8:9] offset:32
.LBB0_7:
	s_wait_alu 0xfffe
	s_or_b32 exec_lo, exec_lo, s2
	v_and_b32_e32 v0, 0xff, v171
	v_and_b32_e32 v1, 0xff, v66
	global_wb scope:SCOPE_SE
	s_wait_storecnt_dscnt 0x0
	s_barrier_signal -1
	s_barrier_wait -1
	v_mul_lo_u16 v0, 0xcd, v0
	v_mul_lo_u16 v1, 0xcd, v1
	global_inv scope:SCOPE_SE
	v_add_nc_u32_e32 v81, 0x400, v111
	v_add_nc_u32_e32 v83, 0xa00, v111
	v_lshrrev_b16 v10, 11, v0
	v_lshrrev_b16 v8, 11, v1
	v_add_nc_u32_e32 v84, 0x1000, v111
	v_add_nc_u32_e32 v82, 0x1400, v111
	;; [unrolled: 1-line block ×3, first 2 shown]
	v_mul_lo_u16 v0, v10, 10
	v_mul_lo_u16 v1, v8, 10
	v_and_b32_e32 v10, 0xffff, v10
	v_add_nc_u32_e32 v90, 0x600, v111
	v_add_nc_u32_e32 v87, 0xc00, v111
	v_sub_nc_u16 v0, v171, v0
	v_sub_nc_u16 v1, v66, v1
	v_mul_u32_u24_e32 v10, 60, v10
	v_add_nc_u32_e32 v86, 0x1800, v111
	v_add_nc_u32_e32 v91, 0x200, v111
	v_and_b32_e32 v11, 0xff, v0
	v_and_b32_e32 v9, 0xff, v1
	v_add_nc_u32_e32 v88, 0x800, v111
	v_add_nc_u32_e32 v89, 0x1e00, v111
	v_and_b32_e32 v8, 0xffff, v8
	v_mad_co_u64_u32 v[12:13], null, v11, 20, s[0:1]
	v_mad_co_u64_u32 v[14:15], null, v9, 20, s[0:1]
	v_add_lshl_u32 v195, v10, v11, 2
	s_delay_alu instid0(VALU_DEP_4)
	v_mul_u32_u24_e32 v8, 60, v8
	s_clause 0x3
	global_load_b128 v[4:7], v[12:13], off
	global_load_b128 v[0:3], v[14:15], off
	global_load_b32 v176, v[12:13], off offset:16
	global_load_b32 v175, v[14:15], off offset:16
	ds_load_2addr_b32 v[12:13], v81 offset0:104 offset1:164
	ds_load_2addr_b32 v[14:15], v83 offset0:80 offset1:140
	;; [unrolled: 1-line block ×3, first 2 shown]
	v_add_lshl_u32 v192, v8, v9, 2
	s_wait_dscnt 0x2
	v_lshrrev_b32_e32 v18, 16, v12
	s_wait_dscnt 0x1
	v_lshrrev_b32_e32 v21, 16, v15
	v_lshrrev_b32_e32 v19, 16, v13
	;; [unrolled: 1-line block ×3, first 2 shown]
	s_wait_dscnt 0x0
	v_lshrrev_b32_e32 v22, 16, v16
	s_wait_loadcnt 0x3
	v_lshrrev_b32_e32 v238, 16, v4
	s_wait_loadcnt 0x2
	v_lshrrev_b32_e32 v231, 16, v1
	v_lshrrev_b32_e32 v232, 16, v0
	;; [unrolled: 1-line block ×4, first 2 shown]
	v_mul_f16_e64 v10, v18, v238
	v_mul_f16_e64 v24, v21, v231
	;; [unrolled: 1-line block ×5, first 2 shown]
	v_fma_f16 v61, v12, v4, -v10
	v_fma_f16 v64, v15, v1, -v24
	v_mul_f16_e64 v10, v22, v236
	v_lshrrev_b32_e32 v15, 16, v17
	v_lshrrev_b32_e32 v233, 16, v2
	v_mul_f16_e64 v60, v12, v238
	v_fma_f16 v62, v13, v0, -v11
	v_mul_f16_e64 v63, v13, v232
	v_mul_f16_e64 v12, v14, v237
	v_fma_f16 v13, v14, v5, -v23
	v_fma_f16 v14, v16, v6, -v10
	v_mul_f16_e64 v10, v15, v233
	v_lshrrev_b32_e32 v239, 16, v7
	v_lshrrev_b32_e32 v235, 16, v3
	s_wait_loadcnt 0x1
	v_lshrrev_b32_e32 v33, 16, v176
	s_wait_loadcnt 0x0
	v_lshrrev_b32_e32 v32, 16, v175
	v_fma_f16 v23, v17, v2, -v10
	ds_load_2addr_b32 v[10:11], v82 offset0:160 offset1:220
	v_mul_f16_e64 v17, v17, v233
	v_fmac_f16_e32 v63, v19, v0
	v_fmac_f16_e32 v65, v21, v1
	v_add_f16_e32 v80, v62, v23
	v_fmac_f16_e32 v12, v20, v5
	v_fmac_f16_e32 v17, v15, v2
	v_mul_f16_e64 v16, v16, v236
	v_fmac_f16_e32 v60, v18, v4
	s_delay_alu instid0(VALU_DEP_3) | instskip(NEXT) | instid1(VALU_DEP_3)
	v_add_f16_e32 v92, v63, v17
	v_fmac_f16_e32 v16, v22, v6
	s_wait_dscnt 0x0
	v_lshrrev_b32_e32 v24, 16, v10
	v_lshrrev_b32_e32 v26, 16, v11
	v_mul_f16_e64 v75, v11, v235
	s_delay_alu instid0(VALU_DEP_3) | instskip(NEXT) | instid1(VALU_DEP_3)
	v_mul_f16_e64 v25, v24, v239
	v_mul_f16_e64 v27, v26, v235
	s_delay_alu instid0(VALU_DEP_3) | instskip(NEXT) | instid1(VALU_DEP_3)
	v_fmac_f16_e32 v75, v26, v3
	v_fma_f16 v25, v10, v7, -v25
	s_delay_alu instid0(VALU_DEP_3)
	v_fma_f16 v67, v11, v3, -v27
	v_mul_f16_e64 v27, v10, v239
	ds_load_2addr_b32 v[10:11], v85 offset0:8 offset1:68
	v_add_f16_e32 v9, v65, v75
	v_sub_f16_e32 v100, v13, v25
	v_add_f16_e32 v15, v64, v67
	v_fmac_f16_e32 v27, v24, v7
	s_delay_alu instid0(VALU_DEP_1) | instskip(SKIP_4) | instid1(VALU_DEP_3)
	v_sub_f16_e32 v102, v12, v27
	s_wait_dscnt 0x0
	v_lshrrev_b32_e32 v28, 16, v10
	v_lshrrev_b32_e32 v30, 16, v11
	v_mul_f16_e32 v77, v11, v32
	v_mul_f16_e32 v29, v28, v33
	s_delay_alu instid0(VALU_DEP_3) | instskip(NEXT) | instid1(VALU_DEP_3)
	v_mul_f16_e32 v31, v30, v32
	v_fmac_f16_e64 v77, v30, v175
	s_delay_alu instid0(VALU_DEP_3) | instskip(NEXT) | instid1(VALU_DEP_3)
	v_fma_f16 v29, v10, v176, -v29
	v_fma_f16 v76, v11, v175, -v31
	v_mul_f16_e32 v31, v10, v33
	ds_load_2addr_b32 v[10:11], v111 offset1:60
	v_sub_f16_e32 v104, v14, v29
	v_fmac_f16_e64 v31, v28, v176
	s_delay_alu instid0(VALU_DEP_1)
	v_sub_f16_e32 v106, v16, v31
	s_wait_dscnt 0x0
	v_lshrrev_b32_e32 v78, 16, v11
	v_add_f16_e32 v79, v11, v64
	v_fmac_f16_e32 v11, -0.5, v15
	v_add_f16_e32 v15, v23, v76
	v_lshrrev_b32_e32 v99, 16, v10
	v_add_f16_e32 v8, v78, v65
	v_sub_f16_e32 v64, v64, v67
	v_fmac_f16_e32 v78, -0.5, v9
	v_fmac_f16_e32 v62, -0.5, v15
	v_add_f16_e32 v15, v17, v77
	v_add_f16_e32 v8, v8, v75
	s_delay_alu instid0(VALU_DEP_2) | instskip(SKIP_2) | instid1(VALU_DEP_2)
	v_fmac_f16_e32 v63, -0.5, v15
	v_sub_f16_e32 v15, v65, v75
	v_add_f16_e32 v65, v79, v67
	v_fmamk_f16 v93, v15, 0x3aee, v11
	v_fmac_f16_e32 v11, 0xbaee, v15
	v_sub_f16_e32 v15, v17, v77
	v_add_f16_e32 v17, v13, v25
	s_delay_alu instid0(VALU_DEP_2) | instskip(NEXT) | instid1(VALU_DEP_2)
	v_fmamk_f16 v94, v15, 0x3aee, v62
	v_fma_f16 v96, -0.5, v17, v10
	v_add_f16_e32 v10, v10, v13
	v_fmac_f16_e32 v62, 0xbaee, v15
	v_sub_f16_e32 v15, v23, v76
	v_add_f16_e32 v13, v16, v31
	v_fmamk_f16 v112, v102, 0x3aee, v96
	v_add_f16_e32 v101, v10, v25
	v_add_f16_e32 v10, v99, v12
	v_fmamk_f16 v95, v15, 0xbaee, v63
	v_fmac_f16_e32 v63, 0x3aee, v15
	v_mul_f16_e32 v15, -0.5, v62
	v_fmac_f16_e32 v96, 0xbaee, v102
	v_add_f16_e32 v103, v10, v27
	v_add_f16_e32 v10, v61, v14
	v_mul_f16_e32 v75, 0xbaee, v94
	v_fmac_f16_e32 v15, 0x3aee, v63
	s_delay_alu instid0(VALU_DEP_3) | instskip(SKIP_1) | instid1(VALU_DEP_3)
	v_add_f16_e32 v105, v10, v29
	v_add_f16_e32 v10, v60, v16
	;; [unrolled: 1-line block ×3, first 2 shown]
	v_sub_f16_e32 v98, v11, v15
	v_add_f16_e32 v11, v12, v27
	v_add_f16_e32 v12, v14, v29
	;; [unrolled: 1-line block ×3, first 2 shown]
	v_fmac_f16_e32 v60, -0.5, v13
	v_add_f16_e32 v10, v101, v105
	v_fmac_f16_e32 v99, -0.5, v11
	v_fmac_f16_e32 v61, -0.5, v12
	v_add_f16_e32 v11, v103, v107
	v_and_b32_e32 v14, 0xff, v40
	v_and_b32_e32 v15, 0xff, v41
	v_fmamk_f16 v113, v100, 0xbaee, v99
	v_add_nc_u32_e32 v12, 0xf0, v171
	v_pack_b32_f16 v108, v10, v11
	v_fmamk_f16 v10, v104, 0xbaee, v60
	v_fmamk_f16 v11, v106, 0x3aee, v61
	v_fmac_f16_e32 v61, 0xbaee, v106
	v_and_b32_e32 v13, 0xffff, v12
	v_fmac_f16_e32 v60, 0x3aee, v104
	v_mul_f16_e32 v109, 0x3aee, v10
	v_mul_f16_e32 v110, 0xbaee, v11
	v_mul_f16_e32 v102, -0.5, v61
	v_fmac_f16_e32 v99, 0x3aee, v100
	v_sub_f16_e32 v100, v101, v105
	v_fmac_f16_e32 v109, 0.5, v11
	v_fmac_f16_e32 v110, 0.5, v10
	v_fmac_f16_e32 v102, 0x3aee, v60
	v_mul_f16_e32 v60, -0.5, v60
	v_sub_f16_e32 v101, v103, v107
	v_add_f16_e32 v10, v112, v109
	v_add_f16_e32 v11, v113, v110
	v_fmac_f16_e32 v75, 0.5, v95
	v_fmac_f16_e32 v60, 0xbaee, v61
	v_pack_b32_f16 v61, v100, v101
	v_add_f16_e32 v100, v96, v102
	v_pack_b32_f16 v114, v10, v11
	v_mul_lo_u16 v10, 0xcd, v14
	v_add_f16_e32 v101, v99, v60
	v_sub_f16_e32 v96, v96, v102
	v_sub_f16_e32 v60, v99, v60
	s_delay_alu instid0(VALU_DEP_4) | instskip(SKIP_2) | instid1(VALU_DEP_4)
	v_lshrrev_b16 v115, 11, v10
	v_mul_lo_u16 v10, 0xcd, v15
	v_pack_b32_f16 v100, v100, v101
	v_pack_b32_f16 v60, v96, v60
	s_delay_alu instid0(VALU_DEP_3) | instskip(SKIP_1) | instid1(VALU_DEP_1)
	v_lshrrev_b16 v116, 11, v10
	v_mul_u32_u24_e32 v10, 0xcccd, v13
	v_lshrrev_b32_e32 v118, 19, v10
	v_mul_lo_u16 v10, v115, 10
	s_delay_alu instid0(VALU_DEP_1) | instskip(SKIP_1) | instid1(VALU_DEP_2)
	v_sub_nc_u16 v16, v40, v10
	v_mul_lo_u16 v10, v116, 10
	v_and_b32_e32 v117, 0xff, v16
	s_delay_alu instid0(VALU_DEP_2) | instskip(SKIP_2) | instid1(VALU_DEP_4)
	v_sub_nc_u16 v17, v41, v10
	v_add_nc_u32_e32 v10, 0x12c, v171
	v_mul_lo_u16 v16, v118, 10
	v_mad_co_u64_u32 v[22:23], null, v117, 20, s[0:1]
	s_delay_alu instid0(VALU_DEP_3) | instskip(NEXT) | instid1(VALU_DEP_3)
	v_and_b32_e32 v11, 0xffff, v10
	v_sub_nc_u16 v120, v12, v16
	v_and_b32_e32 v119, 0xff, v17
	s_delay_alu instid0(VALU_DEP_3) | instskip(NEXT) | instid1(VALU_DEP_2)
	v_mul_u32_u24_e32 v18, 0xcccd, v11
	v_mad_co_u64_u32 v[20:21], null, v119, 20, s[0:1]
	s_delay_alu instid0(VALU_DEP_2) | instskip(NEXT) | instid1(VALU_DEP_1)
	v_lshrrev_b32_e32 v24, 19, v18
	v_mul_lo_u16 v16, v24, 10
	s_delay_alu instid0(VALU_DEP_1) | instskip(SKIP_1) | instid1(VALU_DEP_2)
	v_sub_nc_u16 v25, v10, v16
	v_mul_lo_u16 v16, v120, 20
	v_mul_lo_u16 v17, v25, 20
	s_delay_alu instid0(VALU_DEP_2) | instskip(SKIP_1) | instid1(VALU_DEP_3)
	v_and_b32_e32 v16, 0xffff, v16
	v_mad_u16 v24, v24, 60, v25
	v_and_b32_e32 v18, 0xffff, v17
	s_delay_alu instid0(VALU_DEP_3) | instskip(SKIP_2) | instid1(VALU_DEP_3)
	v_add_co_u32 v16, s2, s0, v16
	s_wait_alu 0xf1ff
	v_add_co_ci_u32_e64 v17, null, s1, 0, s2
	v_add_co_u32 v18, s2, s0, v18
	s_wait_alu 0xf1ff
	v_add_co_ci_u32_e64 v19, null, s1, 0, s2
	s_clause 0x5
	global_load_b32 v185, v[20:21], off offset:16
	global_load_b32 v183, v[16:17], off offset:16
	;; [unrolled: 1-line block ×4, first 2 shown]
	global_load_b128 v[32:35], v[22:23], off
	global_load_b128 v[28:31], v[20:21], off
	ds_load_2addr_b32 v[26:27], v111 offset0:120 offset1:180
	ds_load_2addr_b32 v[36:37], v90 offset0:96 offset1:156
	;; [unrolled: 1-line block ×12, first 2 shown]
	s_clause 0x1
	global_load_b128 v[20:23], v[16:17], off
	global_load_b128 v[16:19], v[18:19], off
	global_wb scope:SCOPE_SE
	s_wait_loadcnt_dscnt 0x0
	s_barrier_signal -1
	s_barrier_wait -1
	global_inv scope:SCOPE_SE
	ds_store_2addr_b32 v195, v100, v61 offset0:20 offset1:30
	v_sub_f16_e32 v61, v112, v109
	v_sub_f16_e32 v100, v113, v110
	ds_store_2addr_b32 v195, v108, v114 offset1:10
	v_and_b32_e32 v24, 0xffff, v24
	v_pack_b32_f16 v61, v61, v100
	s_delay_alu instid0(VALU_DEP_2)
	v_lshlrev_b32_e32 v200, 2, v24
	ds_store_2addr_b32 v195, v61, v60 offset0:40 offset1:50
	v_add_f16_e32 v60, v80, v76
	v_add_f16_e32 v61, v92, v77
	v_fmamk_f16 v76, v64, 0xbaee, v78
	v_fmac_f16_e32 v78, 0x3aee, v64
	v_lshrrev_b32_e32 v64, 16, v39
	v_add_f16_e32 v9, v65, v60
	v_add_f16_e32 v67, v8, v61
	;; [unrolled: 1-line block ×3, first 2 shown]
	v_sub_f16_e32 v8, v8, v61
	v_lshrrev_b32_e32 v80, 16, v45
	s_delay_alu instid0(VALU_DEP_4) | instskip(SKIP_2) | instid1(VALU_DEP_2)
	v_pack_b32_f16 v9, v9, v67
	v_mul_f16_e32 v67, 0x3aee, v95
	v_lshrrev_b32_e32 v95, 16, v47
	v_fmac_f16_e32 v67, 0.5, v94
	s_delay_alu instid0(VALU_DEP_1) | instskip(NEXT) | instid1(VALU_DEP_1)
	v_add_f16_e32 v77, v93, v67
	v_pack_b32_f16 v77, v77, v79
	ds_store_2addr_b32 v192, v9, v77 offset1:10
	v_sub_f16_e32 v9, v65, v60
	v_mul_f16_e32 v60, -0.5, v63
	s_delay_alu instid0(VALU_DEP_2) | instskip(NEXT) | instid1(VALU_DEP_2)
	v_pack_b32_f16 v8, v9, v8
	v_fmac_f16_e32 v60, 0xbaee, v62
	v_lshrrev_b32_e32 v62, 16, v38
	s_delay_alu instid0(VALU_DEP_2) | instskip(SKIP_2) | instid1(VALU_DEP_3)
	v_add_f16_e32 v9, v78, v60
	v_sub_f16_e32 v60, v78, v60
	v_lshrrev_b32_e32 v78, 16, v44
	v_pack_b32_f16 v9, v97, v9
	ds_store_2addr_b32 v192, v9, v8 offset0:20 offset1:30
	v_sub_f16_e32 v8, v93, v67
	v_sub_f16_e32 v9, v76, v75
	v_lshrrev_b32_e32 v76, 16, v43
	v_lshrrev_b32_e32 v67, 16, v42
	;; [unrolled: 1-line block ×3, first 2 shown]
	s_delay_alu instid0(VALU_DEP_4) | instskip(SKIP_4) | instid1(VALU_DEP_1)
	v_pack_b32_f16 v8, v8, v9
	v_pack_b32_f16 v9, v98, v60
	v_lshrrev_b32_e32 v60, 16, v37
	ds_store_2addr_b32 v192, v8, v9 offset0:40 offset1:50
	v_and_b32_e32 v8, 0xffff, v115
	v_mul_u32_u24_e32 v8, 60, v8
	s_delay_alu instid0(VALU_DEP_1)
	v_add_lshl_u32 v190, v8, v117, 2
	v_lshrrev_b32_e32 v8, 16, v36
	v_lshrrev_b32_e32 v97, 16, v185
	;; [unrolled: 1-line block ×8, first 2 shown]
	v_mul_f16_e64 v9, v8, v251
	v_mul_f16_e64 v65, v64, v248
	v_lshrrev_b32_e32 v249, 16, v30
	v_mul_f16_e64 v92, v80, v250
	v_mul_f16_e64 v61, v60, v247
	v_fma_f16 v9, v36, v32, -v9
	v_mul_f16_e64 v36, v36, v251
	v_mul_f16_e64 v63, v62, v252
	v_fma_f16 v65, v39, v29, -v65
	v_mul_f16_e64 v77, v76, v249
	v_fma_f16 v92, v45, v31, -v92
	v_mul_f16_e32 v96, v95, v97
	v_fma_f16 v61, v37, v28, -v61
	v_mul_f16_e64 v37, v37, v247
	v_fma_f16 v63, v38, v33, -v63
	v_mul_f16_e64 v38, v38, v252
	;; [unrolled: 2-line block ×3, first 2 shown]
	v_fma_f16 v96, v47, v185, -v96
	v_mul_f16_e32 v47, v47, v97
	v_fmac_f16_e32 v36, v8, v32
	v_add_f16_e32 v8, v65, v92
	v_mul_f16_e64 v39, v39, v248
	v_mul_f16_e64 v45, v45, v250
	v_fmac_f16_e32 v38, v62, v33
	v_fmac_f16_e32 v37, v60, v28
	v_fmac_f16_e32 v43, v76, v30
	v_fmac_f16_e64 v47, v95, v185
	v_lshrrev_b32_e32 v60, 16, v27
	v_add_f16_e32 v62, v27, v65
	v_fmac_f16_e32 v27, -0.5, v8
	v_add_f16_e32 v8, v77, v96
	v_fmac_f16_e32 v39, v64, v29
	v_fmac_f16_e32 v45, v80, v31
	v_add_f16_e32 v64, v61, v77
	v_add_f16_e32 v76, v37, v43
	v_fmac_f16_e32 v61, -0.5, v8
	v_add_f16_e32 v8, v43, v47
	v_lshrrev_b32_e32 v253, 16, v34
	v_lshrrev_b32_e32 v254, 16, v35
	v_mul_f16_e32 v94, v93, v98
	v_lshrrev_b32_e32 v121, 16, v20
	v_fmac_f16_e32 v37, -0.5, v8
	v_sub_f16_e32 v8, v39, v45
	v_mul_f16_e64 v75, v67, v253
	v_mul_f16_e64 v79, v78, v254
	v_fma_f16 v94, v46, v187, -v94
	v_mul_f16_e32 v46, v46, v98
	v_fmamk_f16 v80, v8, 0x3aee, v27
	v_fmac_f16_e32 v27, 0xbaee, v8
	v_sub_f16_e32 v8, v43, v47
	v_fma_f16 v75, v42, v34, -v75
	v_mul_f16_e64 v42, v42, v253
	v_fma_f16 v79, v44, v35, -v79
	v_mul_f16_e64 v44, v44, v254
	v_fmamk_f16 v43, v8, 0x3aee, v61
	v_fmac_f16_e32 v61, 0xbaee, v8
	v_sub_f16_e32 v8, v77, v96
	v_add_f16_e32 v95, v63, v79
	v_fmac_f16_e32 v42, v67, v34
	v_fmac_f16_e32 v44, v78, v35
	v_fmac_f16_e64 v46, v93, v187
	v_fmamk_f16 v77, v8, 0xbaee, v37
	v_fmac_f16_e32 v37, 0x3aee, v8
	v_mul_f16_e32 v8, -0.5, v61
	v_fma_f16 v95, -0.5, v95, v26
	v_sub_f16_e32 v78, v38, v44
	v_add_f16_e32 v93, v36, v42
	v_lshrrev_b32_e32 v255, 16, v16
	v_fmac_f16_e32 v8, 0x3aee, v37
	v_lshrrev_b32_e32 v113, 16, v17
	v_lshrrev_b32_e32 v117, 16, v19
	;; [unrolled: 1-line block ×4, first 2 shown]
	v_add_f16_e32 v97, v27, v8
	v_sub_f16_e32 v8, v27, v8
	v_lshrrev_b32_e32 v27, 16, v26
	v_add_f16_e32 v26, v26, v63
	v_sub_f16_e32 v63, v63, v79
	v_lshrrev_b32_e32 v177, 16, v22
	v_lshrrev_b32_e32 v126, 16, v23
	v_add_f16_e32 v67, v27, v38
	v_add_f16_e32 v38, v38, v44
	;; [unrolled: 1-line block ×4, first 2 shown]
	s_delay_alu instid0(VALU_DEP_4) | instskip(SKIP_4) | instid1(VALU_DEP_4)
	v_add_f16_e32 v44, v67, v44
	v_add_f16_e32 v67, v9, v75
	v_sub_f16_e32 v75, v75, v94
	v_fmac_f16_e32 v27, -0.5, v38
	v_fmac_f16_e32 v9, -0.5, v79
	v_add_f16_e32 v67, v67, v94
	v_add_f16_e32 v94, v42, v46
	v_sub_f16_e32 v42, v42, v46
	v_add_f16_e32 v46, v93, v46
	v_fmamk_f16 v98, v63, 0xbaee, v27
	v_add_f16_e32 v38, v26, v67
	v_fmac_f16_e32 v36, -0.5, v94
	v_fmamk_f16 v93, v42, 0x3aee, v9
	v_add_f16_e32 v79, v44, v46
	v_fmac_f16_e32 v9, 0xbaee, v42
	v_fmac_f16_e32 v27, 0x3aee, v63
	s_delay_alu instid0(VALU_DEP_3) | instskip(SKIP_3) | instid1(VALU_DEP_3)
	v_pack_b32_f16 v38, v38, v79
	v_fmamk_f16 v79, v75, 0xbaee, v36
	v_fmac_f16_e32 v36, 0x3aee, v75
	v_lshrrev_b32_e32 v75, 16, v183
	v_mul_f16_e32 v94, 0x3aee, v79
	s_delay_alu instid0(VALU_DEP_1) | instskip(SKIP_1) | instid1(VALU_DEP_1)
	v_fmac_f16_e32 v94, 0.5, v93
	v_mul_f16_e32 v93, 0xbaee, v93
	v_fmac_f16_e32 v93, 0.5, v79
	v_fmamk_f16 v79, v78, 0x3aee, v95
	v_fmac_f16_e32 v95, 0xbaee, v78
	s_delay_alu instid0(VALU_DEP_3) | instskip(NEXT) | instid1(VALU_DEP_3)
	v_add_f16_e32 v100, v98, v93
	v_add_f16_e32 v99, v79, v94
	s_delay_alu instid0(VALU_DEP_1) | instskip(SKIP_2) | instid1(VALU_DEP_1)
	v_pack_b32_f16 v99, v99, v100
	ds_store_2addr_b32 v190, v38, v99 offset1:10
	v_mul_f16_e32 v38, -0.5, v9
	v_fmac_f16_e32 v38, 0x3aee, v36
	v_mul_f16_e32 v36, -0.5, v36
	s_delay_alu instid0(VALU_DEP_2) | instskip(NEXT) | instid1(VALU_DEP_2)
	v_add_f16_e32 v42, v95, v38
	v_fmac_f16_e32 v36, 0xbaee, v9
	v_sub_f16_e32 v9, v26, v67
	v_sub_f16_e32 v26, v44, v46
	v_lshrrev_b32_e32 v67, 16, v182
	s_delay_alu instid0(VALU_DEP_4) | instskip(SKIP_1) | instid1(VALU_DEP_4)
	v_add_f16_e32 v44, v27, v36
	v_sub_f16_e32 v27, v27, v36
	v_pack_b32_f16 v9, v9, v26
	v_sub_f16_e32 v26, v95, v38
	v_sub_f16_e32 v38, v98, v93
	v_pack_b32_f16 v42, v42, v44
	v_add_f16_e32 v36, v64, v96
	v_lshrrev_b32_e32 v64, 16, v59
	v_pack_b32_f16 v26, v26, v27
	v_sub_f16_e32 v27, v65, v92
	ds_store_2addr_b32 v190, v42, v9 offset0:20 offset1:30
	v_sub_f16_e32 v9, v79, v94
	v_mul_f16_e32 v42, 0xbaee, v43
	v_mul_f16_e32 v65, v64, v67
	s_delay_alu instid0(VALU_DEP_3) | instskip(SKIP_1) | instid1(VALU_DEP_4)
	v_pack_b32_f16 v9, v9, v38
	v_add_f16_e32 v38, v76, v47
	v_fmac_f16_e32 v42, 0.5, v77
	s_delay_alu instid0(VALU_DEP_4)
	v_fma_f16 v65, v59, v182, -v65
	v_mul_f16_e32 v59, v59, v67
	ds_store_2addr_b32 v190, v9, v26 offset0:40 offset1:50
	v_add_f16_e32 v9, v39, v45
	v_add_f16_e32 v26, v60, v39
	v_mul_f16_e32 v39, 0x3aee, v77
	v_fmac_f16_e64 v59, v64, v182
	s_delay_alu instid0(VALU_DEP_4) | instskip(SKIP_1) | instid1(VALU_DEP_4)
	v_fmac_f16_e32 v60, -0.5, v9
	v_add_f16_e32 v9, v62, v92
	v_fmac_f16_e32 v39, 0.5, v43
	v_and_b32_e32 v43, 0xffff, v116
	v_add_f16_e32 v26, v26, v45
	v_lshrrev_b32_e32 v62, 16, v58
	s_delay_alu instid0(VALU_DEP_4) | instskip(NEXT) | instid1(VALU_DEP_4)
	v_add_f16_e32 v45, v80, v39
	v_mul_u32_u24_e32 v43, 60, v43
	s_delay_alu instid0(VALU_DEP_4)
	v_add_f16_e32 v44, v26, v38
	v_sub_f16_e32 v26, v26, v38
	v_lshrrev_b32_e32 v38, 16, v52
	v_mul_f16_e32 v63, v62, v75
	v_add_lshl_u32 v196, v43, v119, 2
	v_add_f16_e32 v43, v9, v36
	v_sub_f16_e32 v9, v9, v36
	s_delay_alu instid0(VALU_DEP_4) | instskip(SKIP_1) | instid1(VALU_DEP_4)
	v_fma_f16 v63, v58, v183, -v63
	v_mul_f16_e32 v58, v58, v75
	v_pack_b32_f16 v43, v43, v44
	v_fmamk_f16 v44, v27, 0xbaee, v60
	v_fmac_f16_e32 v60, 0x3aee, v27
	v_mul_f16_e32 v27, -0.5, v37
	v_pack_b32_f16 v9, v9, v26
	v_mul_f16_e64 v37, v51, v255
	v_sub_f16_e32 v26, v44, v42
	v_add_f16_e32 v46, v44, v42
	v_fmac_f16_e32 v27, 0xbaee, v61
	v_lshrrev_b32_e32 v42, 16, v53
	v_mul_f16_e32 v44, v52, v123
	v_fmac_f16_e64 v58, v62, v183
	v_pack_b32_f16 v45, v45, v46
	v_add_f16_e32 v36, v60, v27
	v_sub_f16_e32 v27, v60, v27
	v_lshrrev_b32_e32 v60, 16, v57
	v_fmac_f16_e32 v44, v38, v21
	ds_store_2addr_b32 v196, v43, v45 offset1:10
	v_pack_b32_f16 v36, v97, v36
	v_pack_b32_f16 v8, v8, v27
	v_mul_f16_e32 v43, v42, v113
	v_mul_f16_e32 v61, v60, v117
	;; [unrolled: 1-line block ×3, first 2 shown]
	ds_store_2addr_b32 v196, v36, v9 offset0:20 offset1:30
	v_sub_f16_e32 v9, v80, v39
	v_mul_f16_e32 v36, v50, v121
	v_fma_f16 v43, v53, v17, -v43
	v_fma_f16 v61, v57, v19, -v61
	v_mul_f16_e32 v53, v55, v115
	v_pack_b32_f16 v9, v9, v26
	v_lshrrev_b32_e32 v26, 16, v51
	v_mul_f16_e32 v39, v38, v123
	v_mul_f16_e32 v57, v57, v117
	v_add_f16_e32 v38, v49, v43
	ds_store_2addr_b32 v196, v9, v8 offset0:40 offset1:50
	v_lshrrev_b32_e32 v8, 16, v50
	v_mul_f16_e64 v27, v26, v255
	v_fmac_f16_e32 v37, v26, v16
	v_lshrrev_b32_e32 v26, 16, v49
	v_fma_f16 v39, v52, v21, -v39
	v_mul_f16_e32 v9, v8, v121
	v_fma_f16 v27, v51, v16, -v27
	v_fmac_f16_e32 v36, v8, v20
	v_add_f16_e32 v8, v43, v61
	v_lshrrev_b32_e32 v46, 16, v54
	v_fma_f16 v9, v50, v20, -v9
	v_lshrrev_b32_e32 v50, 16, v55
	v_mul_f16_e64 v52, v54, v177
	v_fmac_f16_e32 v49, -0.5, v8
	v_fmac_f16_e32 v45, v42, v17
	v_fmac_f16_e32 v57, v60, v19
	v_mul_f16_e32 v51, v50, v115
	v_fmac_f16_e32 v53, v50, v18
	v_mul_f16_e64 v47, v46, v177
	v_fmac_f16_e32 v52, v46, v22
	s_delay_alu instid0(VALU_DEP_4) | instskip(NEXT) | instid1(VALU_DEP_4)
	v_fma_f16 v51, v55, v18, -v51
	v_add_f16_e32 v46, v37, v53
	s_delay_alu instid0(VALU_DEP_4) | instskip(SKIP_4) | instid1(VALU_DEP_4)
	v_fma_f16 v47, v54, v22, -v47
	v_lshrrev_b32_e32 v54, 16, v56
	v_add_f16_e32 v67, v36, v52
	v_add_f16_e32 v8, v51, v65
	;; [unrolled: 1-line block ×3, first 2 shown]
	v_mul_f16_e32 v55, v54, v126
	s_delay_alu instid0(VALU_DEP_3) | instskip(SKIP_1) | instid1(VALU_DEP_3)
	v_fmac_f16_e32 v27, -0.5, v8
	v_add_f16_e32 v8, v53, v59
	v_fma_f16 v55, v56, v23, -v55
	v_mul_f16_e32 v56, v56, v126
	s_delay_alu instid0(VALU_DEP_3) | instskip(SKIP_1) | instid1(VALU_DEP_3)
	v_fmac_f16_e32 v37, -0.5, v8
	v_sub_f16_e32 v8, v45, v57
	v_fmac_f16_e32 v56, v54, v23
	v_add_f16_e32 v54, v39, v55
	s_delay_alu instid0(VALU_DEP_3) | instskip(SKIP_2) | instid1(VALU_DEP_4)
	v_fmamk_f16 v50, v8, 0x3aee, v49
	v_fmac_f16_e32 v49, 0xbaee, v8
	v_sub_f16_e32 v8, v53, v59
	v_fma_f16 v54, -0.5, v54, v48
	v_add_f16_e32 v62, v44, v56
	s_delay_alu instid0(VALU_DEP_3) | instskip(SKIP_2) | instid1(VALU_DEP_1)
	v_fmamk_f16 v53, v8, 0x3aee, v27
	v_fmac_f16_e32 v27, 0xbaee, v8
	v_sub_f16_e32 v8, v51, v65
	v_fmamk_f16 v51, v8, 0xbaee, v37
	v_fmac_f16_e32 v37, 0x3aee, v8
	s_delay_alu instid0(VALU_DEP_4) | instskip(NEXT) | instid1(VALU_DEP_2)
	v_mul_f16_e32 v8, -0.5, v27
	v_mul_f16_e32 v24, -0.5, v37
	s_delay_alu instid0(VALU_DEP_2) | instskip(NEXT) | instid1(VALU_DEP_2)
	v_fmac_f16_e32 v8, 0x3aee, v37
	v_fmac_f16_e32 v24, 0xbaee, v27
	s_delay_alu instid0(VALU_DEP_2) | instskip(SKIP_4) | instid1(VALU_DEP_3)
	v_add_f16_e32 v60, v49, v8
	v_sub_f16_e32 v8, v49, v8
	v_lshrrev_b32_e32 v49, 16, v48
	v_add_f16_e32 v48, v48, v39
	v_sub_f16_e32 v39, v39, v55
	v_add_f16_e32 v64, v49, v44
	s_delay_alu instid0(VALU_DEP_3)
	v_add_f16_e32 v48, v48, v55
	v_add_f16_e32 v55, v47, v63
	v_fmac_f16_e32 v49, -0.5, v62
	v_add_f16_e32 v62, v9, v47
	v_sub_f16_e32 v47, v47, v63
	v_sub_f16_e32 v44, v44, v56
	v_fmac_f16_e32 v9, -0.5, v55
	v_add_f16_e32 v55, v52, v58
	v_sub_f16_e32 v52, v52, v58
	v_add_f16_e32 v58, v67, v58
	v_fmamk_f16 v76, v39, 0xbaee, v49
	v_fmac_f16_e32 v49, 0x3aee, v39
	v_fmac_f16_e32 v36, -0.5, v55
	v_add_f16_e32 v55, v64, v56
	v_add_f16_e32 v56, v62, v63
	v_fmamk_f16 v63, v52, 0x3aee, v9
	v_fmac_f16_e32 v9, 0xbaee, v52
	v_fmamk_f16 v62, v47, 0xbaee, v36
	v_fmac_f16_e32 v36, 0x3aee, v47
	v_add_f16_e32 v67, v48, v56
	v_add_f16_e32 v75, v55, v58
	v_mul_f16_e32 v39, -0.5, v9
	v_mul_f16_e32 v64, 0x3aee, v62
	s_delay_alu instid0(VALU_DEP_3) | instskip(NEXT) | instid1(VALU_DEP_3)
	v_pack_b32_f16 v67, v67, v75
	v_fmac_f16_e32 v39, 0x3aee, v36
	s_delay_alu instid0(VALU_DEP_3)
	v_fmac_f16_e32 v64, 0.5, v63
	v_mul_f16_e32 v63, 0xbaee, v63
	v_mul_f16_e32 v36, -0.5, v36
	v_fmamk_f16 v75, v44, 0x3aee, v54
	v_fmac_f16_e32 v54, 0xbaee, v44
	v_sub_f16_e32 v44, v55, v58
	v_fmac_f16_e32 v63, 0.5, v62
	v_mad_u16 v62, v118, 60, v120
	v_fmac_f16_e32 v36, 0xbaee, v9
	v_sub_f16_e32 v9, v48, v56
	v_add_f16_e32 v47, v54, v39
	v_sub_f16_e32 v39, v54, v39
	v_and_b32_e32 v62, 0xffff, v62
	v_add_f16_e32 v48, v49, v36
	v_pack_b32_f16 v9, v9, v44
	v_sub_f16_e32 v44, v76, v63
	v_sub_f16_e32 v36, v49, v36
	v_lshlrev_b32_e32 v202, 2, v62
	v_pack_b32_f16 v47, v47, v48
	v_add_f16_e32 v77, v75, v64
	v_add_f16_e32 v78, v76, v63
	v_pack_b32_f16 v36, v39, v36
	v_add_f16_e32 v39, v42, v65
	ds_store_2addr_b32 v202, v47, v9 offset0:20 offset1:30
	v_sub_f16_e32 v9, v75, v64
	v_add_f16_e32 v42, v46, v59
	v_pack_b32_f16 v77, v77, v78
	s_delay_alu instid0(VALU_DEP_3)
	v_pack_b32_f16 v9, v9, v44
	v_mul_f16_e32 v44, 0xbaee, v53
	ds_store_2addr_b32 v202, v67, v77 offset1:10
	ds_store_2addr_b32 v202, v9, v36 offset0:40 offset1:50
	v_add_f16_e32 v9, v45, v57
	v_add_f16_e32 v36, v26, v45
	v_fmac_f16_e32 v44, 0.5, v51
	s_delay_alu instid0(VALU_DEP_3) | instskip(SKIP_1) | instid1(VALU_DEP_4)
	v_fmac_f16_e32 v26, -0.5, v9
	v_add_f16_e32 v9, v38, v61
	v_add_f16_e32 v36, v36, v57
	v_sub_f16_e32 v38, v43, v61
	v_mul_f16_e32 v43, 0x3aee, v51
	s_delay_alu instid0(VALU_DEP_4) | instskip(NEXT) | instid1(VALU_DEP_4)
	v_add_f16_e32 v25, v9, v39
	v_add_f16_e32 v45, v36, v42
	v_sub_f16_e32 v9, v9, v39
	s_delay_alu instid0(VALU_DEP_4) | instskip(NEXT) | instid1(VALU_DEP_3)
	v_fmac_f16_e32 v43, 0.5, v53
	v_pack_b32_f16 v25, v25, v45
	v_fmamk_f16 v45, v38, 0xbaee, v26
	s_delay_alu instid0(VALU_DEP_3) | instskip(SKIP_1) | instid1(VALU_DEP_3)
	v_add_f16_e32 v46, v50, v43
	v_fmac_f16_e32 v26, 0x3aee, v38
	v_add_f16_e32 v47, v45, v44
	s_delay_alu instid0(VALU_DEP_2) | instskip(SKIP_1) | instid1(VALU_DEP_3)
	v_add_f16_e32 v27, v26, v24
	v_sub_f16_e32 v24, v26, v24
	v_pack_b32_f16 v46, v46, v47
	s_delay_alu instid0(VALU_DEP_3) | instskip(NEXT) | instid1(VALU_DEP_3)
	v_pack_b32_f16 v27, v60, v27
	v_pack_b32_f16 v8, v8, v24
	ds_store_2addr_b32 v200, v25, v46 offset1:10
	v_sub_f16_e32 v25, v36, v42
	s_delay_alu instid0(VALU_DEP_1) | instskip(SKIP_3) | instid1(VALU_DEP_1)
	v_pack_b32_f16 v9, v9, v25
	v_sub_f16_e32 v25, v45, v44
	ds_store_2addr_b32 v200, v27, v9 offset0:20 offset1:30
	v_sub_f16_e32 v9, v50, v43
	v_pack_b32_f16 v9, v9, v25
	ds_store_2addr_b32 v200, v9, v8 offset0:40 offset1:50
	v_mul_lo_u16 v8, 0x89, v14
	global_wb scope:SCOPE_SE
	s_wait_dscnt 0x0
	s_barrier_signal -1
	s_barrier_wait -1
	global_inv scope:SCOPE_SE
	v_lshrrev_b16 v8, 13, v8
	ds_load_2addr_b32 v[24:25], v81 offset0:104 offset1:164
	v_mul_lo_u16 v8, v8, 60
	s_delay_alu instid0(VALU_DEP_1) | instskip(SKIP_1) | instid1(VALU_DEP_2)
	v_sub_nc_u16 v14, v40, v8
	v_mul_lo_u16 v8, 0x89, v15
	v_and_b32_e32 v134, 0xff, v14
	s_delay_alu instid0(VALU_DEP_2) | instskip(NEXT) | instid1(VALU_DEP_1)
	v_lshrrev_b16 v8, 13, v8
	v_mul_lo_u16 v8, v8, 60
	s_wait_dscnt 0x0
	v_lshrrev_b32_e32 v26, 16, v24
	s_delay_alu instid0(VALU_DEP_2) | instskip(SKIP_1) | instid1(VALU_DEP_2)
	v_sub_nc_u16 v15, v41, v8
	v_mul_u32_u24_e32 v8, 0x8889, v13
	v_and_b32_e32 v98, 0xff, v15
	s_delay_alu instid0(VALU_DEP_2) | instskip(NEXT) | instid1(VALU_DEP_1)
	v_lshrrev_b32_e32 v8, 21, v8
	v_mul_lo_u16 v8, v8, 60
	s_delay_alu instid0(VALU_DEP_1) | instskip(SKIP_2) | instid1(VALU_DEP_3)
	v_sub_nc_u16 v75, v12, v8
	v_mul_u32_u24_e32 v8, 0x8889, v11
	v_mad_co_u64_u32 v[12:13], null, v171, 20, s[0:1]
	v_mul_lo_u16 v14, v75, 20
	s_delay_alu instid0(VALU_DEP_3) | instskip(SKIP_1) | instid1(VALU_DEP_3)
	v_lshrrev_b32_e32 v8, 21, v8
	v_and_b32_e32 v75, 0xffff, v75
	v_and_b32_e32 v14, 0xffff, v14
	s_delay_alu instid0(VALU_DEP_3) | instskip(NEXT) | instid1(VALU_DEP_2)
	v_mul_lo_u16 v8, v8, 60
	v_add_co_u32 v14, s2, s0, v14
	s_delay_alu instid0(VALU_DEP_2)
	v_sub_nc_u16 v67, v10, v8
	s_clause 0x1
	global_load_b32 v203, v[12:13], off offset:216
	global_load_b128 v[8:11], v[12:13], off offset:200
	v_mul_lo_u16 v15, v67, 20
	s_wait_loadcnt 0x1
	v_lshrrev_b32_e32 v204, 16, v203
	s_wait_loadcnt 0x0
	v_lshrrev_b32_e32 v210, 16, v8
	v_lshrrev_b32_e32 v209, 16, v9
	;; [unrolled: 1-line block ×4, first 2 shown]
	s_delay_alu instid0(VALU_DEP_4) | instskip(SKIP_2) | instid1(VALU_DEP_3)
	v_mul_f16_e64 v27, v26, v210
	v_mul_f16_e64 v97, v24, v210
	;; [unrolled: 1-line block ×3, first 2 shown]
	v_fma_f16 v94, v24, v8, -v27
	v_lshrrev_b32_e32 v27, 16, v25
	s_delay_alu instid0(VALU_DEP_4) | instskip(NEXT) | instid1(VALU_DEP_2)
	v_fmac_f16_e32 v97, v26, v8
	v_mul_f16_e64 v36, v27, v210
	v_fmac_f16_e32 v78, v27, v8
	s_delay_alu instid0(VALU_DEP_2)
	v_fma_f16 v77, v25, v8, -v36
	ds_load_2addr_b32 v[24:25], v83 offset0:80 offset1:140
	s_wait_dscnt 0x0
	v_lshrrev_b32_e32 v36, 16, v24
	v_lshrrev_b32_e32 v38, 16, v25
	v_mul_f16_e64 v80, v25, v209
	s_delay_alu instid0(VALU_DEP_3) | instskip(NEXT) | instid1(VALU_DEP_3)
	v_mul_f16_e64 v37, v36, v209
	v_mul_f16_e64 v39, v38, v209
	s_delay_alu instid0(VALU_DEP_3) | instskip(NEXT) | instid1(VALU_DEP_3)
	v_fmac_f16_e32 v80, v38, v9
	v_fma_f16 v37, v24, v9, -v37
	s_delay_alu instid0(VALU_DEP_3)
	v_fma_f16 v79, v25, v9, -v39
	v_mul_f16_e64 v39, v24, v209
	ds_load_2addr_b32 v[24:25], v84 offset0:56 offset1:116
	v_fmac_f16_e32 v39, v36, v9
	s_wait_dscnt 0x0
	v_lshrrev_b32_e32 v40, 16, v24
	v_lshrrev_b32_e32 v42, 16, v25
	v_mul_f16_e64 v44, v24, v208
	v_mul_f16_e64 v45, v25, v208
	s_delay_alu instid0(VALU_DEP_4) | instskip(NEXT) | instid1(VALU_DEP_4)
	v_mul_f16_e64 v41, v40, v208
	v_mul_f16_e64 v43, v42, v208
	s_delay_alu instid0(VALU_DEP_4) | instskip(NEXT) | instid1(VALU_DEP_4)
	v_fmac_f16_e32 v44, v40, v10
	v_fmac_f16_e32 v45, v42, v10
	s_delay_alu instid0(VALU_DEP_4) | instskip(NEXT) | instid1(VALU_DEP_4)
	v_fma_f16 v41, v24, v10, -v41
	v_fma_f16 v43, v25, v10, -v43
	ds_load_2addr_b32 v[24:25], v82 offset0:160 offset1:220
	v_add_f16_e32 v106, v78, v45
	v_add_f16_e32 v105, v77, v43
	s_wait_dscnt 0x0
	v_lshrrev_b32_e32 v46, 16, v24
	v_lshrrev_b32_e32 v48, 16, v25
	v_mul_f16_e64 v93, v25, v207
	s_delay_alu instid0(VALU_DEP_3) | instskip(NEXT) | instid1(VALU_DEP_3)
	v_mul_f16_e64 v47, v46, v207
	v_mul_f16_e64 v49, v48, v207
	s_delay_alu instid0(VALU_DEP_3) | instskip(NEXT) | instid1(VALU_DEP_3)
	v_fmac_f16_e32 v93, v48, v11
	v_fma_f16 v47, v24, v11, -v47
	s_delay_alu instid0(VALU_DEP_3)
	v_fma_f16 v92, v25, v11, -v49
	v_mul_f16_e64 v49, v24, v207
	ds_load_2addr_b32 v[24:25], v85 offset0:8 offset1:68
	v_add_f16_e32 v27, v37, v47
	v_add_f16_e32 v26, v79, v92
	v_fmac_f16_e32 v49, v46, v11
	v_sub_f16_e32 v116, v37, v47
	s_delay_alu instid0(VALU_DEP_2) | instskip(SKIP_4) | instid1(VALU_DEP_3)
	v_sub_f16_e32 v119, v39, v49
	s_wait_dscnt 0x0
	v_lshrrev_b32_e32 v52, 16, v25
	v_lshrrev_b32_e32 v50, 16, v24
	v_mul_f16_e64 v96, v25, v204
	v_mul_f16_e64 v53, v52, v204
	s_delay_alu instid0(VALU_DEP_3) | instskip(NEXT) | instid1(VALU_DEP_3)
	v_mul_f16_e64 v51, v50, v204
	v_fmac_f16_e64 v96, v52, v203
	s_delay_alu instid0(VALU_DEP_3) | instskip(NEXT) | instid1(VALU_DEP_3)
	v_fma_f16 v95, v25, v203, -v53
	v_fma_f16 v51, v24, v203, -v51
	v_mul_f16_e64 v53, v24, v204
	s_delay_alu instid0(VALU_DEP_3) | instskip(NEXT) | instid1(VALU_DEP_3)
	v_add_f16_e32 v24, v43, v95
	v_sub_f16_e32 v122, v41, v51
	s_delay_alu instid0(VALU_DEP_3) | instskip(NEXT) | instid1(VALU_DEP_3)
	v_fmac_f16_e64 v53, v50, v203
	v_fmac_f16_e32 v77, -0.5, v24
	v_add_f16_e32 v24, v45, v96
	s_delay_alu instid0(VALU_DEP_3) | instskip(NEXT) | instid1(VALU_DEP_2)
	v_sub_f16_e32 v125, v44, v53
	v_fmac_f16_e32 v78, -0.5, v24
	ds_load_2addr_b32 v[24:25], v111 offset1:60
	s_wait_dscnt 0x0
	v_lshrrev_b32_e32 v99, 16, v25
	v_add_f16_e32 v107, v25, v79
	v_fmac_f16_e32 v25, -0.5, v26
	v_sub_f16_e32 v26, v45, v96
	v_fma_f16 v110, -0.5, v27, v24
	v_lshrrev_b32_e32 v114, 16, v24
	v_add_f16_e32 v24, v24, v37
	v_add_f16_e32 v27, v94, v41
	v_fmamk_f16 v108, v26, 0x3aee, v77
	v_fmac_f16_e32 v77, 0xbaee, v26
	v_sub_f16_e32 v26, v43, v95
	v_add_f16_e32 v118, v24, v47
	v_add_f16_e32 v24, v39, v49
	;; [unrolled: 1-line block ×3, first 2 shown]
	v_fma_f16 v131, 0x3aee, v119, v110
	v_fmamk_f16 v109, v26, 0xbaee, v78
	v_fmac_f16_e32 v78, 0x3aee, v26
	v_sub_f16_e32 v26, v80, v93
	v_mad_co_u64_u32 v[36:37], null, v134, 20, s[0:1]
	v_fmac_f16_e32 v110, 0xbaee, v119
	v_sub_f16_e32 v79, v79, v92
	s_delay_alu instid0(VALU_DEP_4) | instskip(SKIP_3) | instid1(VALU_DEP_2)
	v_fmamk_f16 v100, v26, 0x3aee, v25
	v_fmac_f16_e32 v25, 0xbaee, v26
	v_mul_f16_e32 v26, -0.5, v77
	v_add_f16_e32 v92, v107, v92
	v_fmac_f16_e32 v26, 0x3aee, v78
	v_mul_f16_e32 v78, -0.5, v78
	s_delay_alu instid0(VALU_DEP_2)
	v_add_f16_e32 v112, v25, v26
	v_sub_f16_e32 v76, v25, v26
	v_add_f16_e32 v25, v114, v39
	v_fmac_f16_e32 v114, -0.5, v24
	v_add_f16_e32 v24, v44, v53
	v_add_f16_e32 v26, v97, v44
	v_fmac_f16_e32 v78, 0xbaee, v77
	v_add_f16_e32 v120, v25, v49
	v_fma_f16 v132, 0xbaee, v116, v114
	v_fmac_f16_e32 v97, -0.5, v24
	v_add_f16_e32 v24, v41, v51
	v_add_f16_e32 v127, v26, v53
	v_mad_co_u64_u32 v[26:27], null, v98, 20, s[0:1]
	v_fmac_f16_e32 v114, 0x3aee, v116
	s_delay_alu instid0(VALU_DEP_4) | instskip(SKIP_3) | instid1(VALU_DEP_4)
	v_fmac_f16_e32 v94, -0.5, v24
	v_fmamk_f16 v24, v122, 0xbaee, v97
	v_fmac_f16_e32 v97, 0x3aee, v122
	v_lshlrev_b32_e32 v98, 2, v98
	v_fmamk_f16 v25, v125, 0x3aee, v94
	s_delay_alu instid0(VALU_DEP_4) | instskip(SKIP_1) | instid1(VALU_DEP_3)
	v_mul_f16_e64 v128, 0x3aee, v24
	v_fmac_f16_e32 v94, 0xbaee, v125
	v_mul_f16_e64 v129, 0xbaee, v25
	s_delay_alu instid0(VALU_DEP_3) | instskip(SKIP_1) | instid1(VALU_DEP_4)
	v_fmac_f16_e64 v128, 0.5, v25
	v_add_f16_e32 v25, v120, v127
	v_mul_f16_e32 v116, -0.5, v94
	s_delay_alu instid0(VALU_DEP_4) | instskip(SKIP_1) | instid1(VALU_DEP_3)
	v_fmac_f16_e64 v129, 0.5, v24
	v_add_f16_e32 v24, v118, v124
	v_fmac_f16_e32 v116, 0x3aee, v97
	v_mul_f16_e32 v97, -0.5, v97
	s_delay_alu instid0(VALU_DEP_3) | instskip(SKIP_2) | instid1(VALU_DEP_4)
	v_pack_b32_f16 v130, v24, v25
	v_add_f16_e64 v24, v131, v128
	v_add_f16_e64 v25, v132, v129
	v_fmac_f16_e32 v97, 0xbaee, v94
	v_sub_f16_e32 v94, v118, v124
	v_sub_f16_e32 v118, v120, v127
	v_add_f16_e32 v119, v110, v116
	v_pack_b32_f16 v133, v24, v25
	v_and_b32_e32 v24, 0xffff, v15
	s_wait_alu 0xf1ff
	v_add_co_ci_u32_e64 v15, null, s1, 0, s2
	v_add_f16_e32 v120, v114, v97
	v_pack_b32_f16 v94, v94, v118
	v_add_co_u32 v24, s2, s0, v24
	s_wait_alu 0xf1ff
	v_add_co_ci_u32_e64 v25, null, s1, 0, s2
	s_clause 0x7
	global_load_b32 v189, v[26:27], off offset:216
	global_load_b32 v186, v[14:15], off offset:216
	;; [unrolled: 1-line block ×4, first 2 shown]
	global_load_b128 v[48:51], v[36:37], off offset:200
	global_load_b128 v[44:47], v[26:27], off offset:200
	;; [unrolled: 1-line block ×4, first 2 shown]
	v_pack_b32_f16 v119, v119, v120
	ds_load_2addr_b32 v[58:59], v111 offset0:120 offset1:180
	ds_load_2addr_b32 v[101:102], v90 offset0:96 offset1:156
	;; [unrolled: 1-line block ×12, first 2 shown]
	global_wb scope:SCOPE_SE
	s_wait_loadcnt_dscnt 0x0
	s_barrier_signal -1
	s_barrier_wait -1
	global_inv scope:SCOPE_SE
	ds_store_2addr_b32 v111, v130, v133 offset1:60
	ds_store_2addr_b32 v111, v119, v94 offset0:120 offset1:180
	v_sub_f16_e64 v94, v131, v128
	v_sub_f16_e32 v110, v110, v116
	v_sub_f16_e64 v116, v132, v129
	v_sub_f16_e32 v97, v114, v97
	s_delay_alu instid0(VALU_DEP_2) | instskip(NEXT) | instid1(VALU_DEP_2)
	v_pack_b32_f16 v94, v94, v116
	v_pack_b32_f16 v97, v110, v97
	ds_store_2addr_b32 v91, v94, v97 offset0:112 offset1:172
	v_add_f16_e32 v94, v80, v93
	v_add_f16_e32 v80, v99, v80
	s_delay_alu instid0(VALU_DEP_2) | instskip(NEXT) | instid1(VALU_DEP_2)
	v_fmac_f16_e32 v99, -0.5, v94
	v_add_f16_e32 v80, v80, v93
	v_add_f16_e32 v93, v105, v95
	;; [unrolled: 1-line block ×3, first 2 shown]
	v_mul_f16_e32 v95, 0x3aee, v109
	v_mul_f16_e32 v96, 0xbaee, v108
	s_delay_alu instid0(VALU_DEP_4) | instskip(NEXT) | instid1(VALU_DEP_4)
	v_add_f16_e32 v97, v92, v93
	v_add_f16_e32 v105, v80, v94
	v_sub_f16_e32 v77, v92, v93
	v_fmac_f16_e32 v95, 0.5, v108
	v_fmac_f16_e32 v96, 0.5, v109
	s_delay_alu instid0(VALU_DEP_4)
	v_pack_b32_f16 v97, v97, v105
	v_fmamk_f16 v105, v79, 0xbaee, v99
	v_fmac_f16_e32 v99, 0x3aee, v79
	v_sub_f16_e32 v79, v80, v94
	v_add_f16_e32 v106, v100, v95
	v_lshrrev_b32_e32 v94, 16, v60
	v_add_f16_e32 v107, v105, v96
	v_add_f16_e32 v80, v99, v78
	v_pack_b32_f16 v77, v77, v79
	v_sub_f16_e32 v79, v105, v96
	v_sub_f16_e32 v78, v99, v78
	v_pack_b32_f16 v106, v106, v107
	v_pack_b32_f16 v80, v112, v80
	v_lshlrev_b32_e32 v105, 2, v134
	s_delay_alu instid0(VALU_DEP_4)
	v_pack_b32_f16 v76, v76, v78
	v_lshrrev_b32_e32 v78, 16, v62
	ds_store_2addr_b32 v90, v80, v77 offset0:96 offset1:156
	v_sub_f16_e32 v77, v100, v95
	v_lshrrev_b32_e32 v80, 16, v58
	ds_store_2addr_b32 v81, v97, v106 offset0:104 offset1:164
	scratch_store_b32 off, v105, off offset:176 ; 4-byte Folded Spill
	v_pack_b32_f16 v77, v77, v79
	ds_store_2addr_b32 v88, v77, v76 offset0:88 offset1:148
	v_lshrrev_b32_e32 v76, 16, v103
	v_lshrrev_b32_e32 v96, 16, v194
	;; [unrolled: 1-line block ×6, first 2 shown]
	v_mul_f16_e32 v95, v60, v96
	v_mul_f16_e64 v77, v103, v131
	v_mul_f16_e64 v79, v62, v130
	v_lshrrev_b32_e32 v148, 16, v45
	v_mul_f16_e64 v97, v101, v144
	v_fmac_f16_e64 v95, v94, v194
	v_fmac_f16_e32 v77, v76, v49
	v_mul_f16_e64 v76, v76, v131
	v_fmac_f16_e32 v79, v78, v51
	v_mul_f16_e64 v78, v78, v130
	v_mul_f16_e32 v94, v94, v96
	v_add_f16_e32 v93, v80, v77
	v_fma_f16 v76, v103, v49, -v76
	v_add_f16_e32 v92, v77, v79
	v_fma_f16 v62, v62, v51, -v78
	v_lshrrev_b32_e32 v96, 16, v101
	v_fma_f16 v60, v60, v194, -v94
	v_add_f16_e32 v78, v58, v76
	v_fmac_f16_e32 v80, -0.5, v92
	v_add_f16_e32 v92, v76, v62
	v_fmac_f16_e32 v97, v96, v48
	v_mul_f16_e64 v96, v96, v144
	v_add_f16_e32 v78, v78, v62
	v_sub_f16_e32 v62, v76, v62
	v_sub_f16_e32 v76, v77, v79
	v_add_f16_e32 v77, v93, v79
	v_lshrrev_b32_e32 v79, 16, v64
	v_mul_f16_e64 v93, v64, v132
	v_fma_f16 v58, -0.5, v92, v58
	v_lshrrev_b32_e32 v141, 16, v47
	v_lshrrev_b32_e32 v150, 16, v44
	;; [unrolled: 1-line block ×3, first 2 shown]
	v_fmac_f16_e32 v93, v79, v50
	v_mul_f16_e64 v79, v79, v132
	v_fmamk_f16 v92, v76, 0x3aee, v58
	v_fmac_f16_e32 v58, 0xbaee, v76
	v_lshrrev_b32_e32 v158, 16, v41
	v_add_f16_e32 v99, v97, v93
	v_fma_f16 v64, v64, v50, -v79
	v_fma_f16 v79, v101, v48, -v96
	v_lshrrev_b32_e32 v155, 16, v43
	v_lshrrev_b32_e32 v160, 16, v42
	;; [unrolled: 1-line block ×3, first 2 shown]
	v_add_f16_e32 v94, v64, v60
	v_add_f16_e32 v96, v79, v64
	v_sub_f16_e32 v64, v64, v60
	v_lshrrev_b32_e32 v120, 16, v24
	v_lshrrev_b32_e32 v119, 16, v25
	v_fmac_f16_e32 v79, -0.5, v94
	v_add_f16_e32 v94, v93, v95
	v_sub_f16_e32 v93, v93, v95
	v_add_f16_e32 v60, v96, v60
	v_lshrrev_b32_e32 v116, 16, v27
	v_lshrrev_b32_e32 v118, 16, v26
	v_fmac_f16_e32 v97, -0.5, v94
	v_add_f16_e32 v94, v99, v95
	v_fmamk_f16 v96, v93, 0x3aee, v79
	v_fmac_f16_e32 v79, 0xbaee, v93
	v_lshrrev_b32_e32 v93, 16, v61
	v_fmamk_f16 v95, v64, 0xbaee, v97
	v_add_f16_e32 v100, v77, v94
	v_fmac_f16_e32 v97, 0x3aee, v64
	v_sub_f16_e32 v76, v77, v94
	s_delay_alu instid0(VALU_DEP_4) | instskip(NEXT) | instid1(VALU_DEP_3)
	v_mul_f16_e32 v99, 0x3aee, v95
	v_mul_f16_e32 v64, -0.5, v97
	s_delay_alu instid0(VALU_DEP_2) | instskip(SKIP_1) | instid1(VALU_DEP_3)
	v_fmac_f16_e32 v99, 0.5, v96
	v_mul_f16_e32 v96, 0xbaee, v96
	v_fmac_f16_e32 v64, 0xbaee, v79
	s_delay_alu instid0(VALU_DEP_3) | instskip(NEXT) | instid1(VALU_DEP_3)
	v_add_f16_e32 v101, v92, v99
	v_fmac_f16_e32 v96, 0.5, v95
	v_add_f16_e32 v95, v78, v60
	v_sub_f16_e32 v60, v78, v60
	s_delay_alu instid0(VALU_DEP_2)
	v_pack_b32_f16 v95, v95, v100
	v_fmamk_f16 v100, v62, 0xbaee, v80
	v_fmac_f16_e32 v80, 0x3aee, v62
	v_mul_f16_e32 v62, -0.5, v79
	v_pack_b32_f16 v60, v60, v76
	v_add_nc_u32_e32 v76, 0xc00, v105
	v_add_f16_e32 v103, v100, v96
	v_add_f16_e32 v78, v80, v64
	v_fmac_f16_e32 v62, 0x3aee, v97
	v_sub_f16_e32 v64, v80, v64
	v_lshrrev_b32_e32 v80, 16, v63
	v_pack_b32_f16 v101, v101, v103
	v_add_nc_u32_e32 v103, 0xa00, v105
	v_add_f16_e32 v77, v58, v62
	v_sub_f16_e32 v58, v58, v62
	v_sub_f16_e32 v62, v100, v96
	ds_store_2addr_b32 v103, v95, v101 offset0:80 offset1:140
	v_pack_b32_f16 v77, v77, v78
	v_pack_b32_f16 v58, v58, v64
	v_lshrrev_b32_e32 v64, 16, v104
	v_lshrrev_b32_e32 v78, 16, v65
	;; [unrolled: 1-line block ×3, first 2 shown]
	ds_store_2addr_b32 v76, v77, v60 offset0:72 offset1:132
	v_sub_f16_e32 v60, v92, v99
	v_mul_f16_e64 v92, v80, v141
	v_mul_f16_e64 v79, v78, v145
	v_mul_f16_e32 v94, v93, v95
	v_mul_f16_e64 v77, v104, v148
	v_pack_b32_f16 v60, v60, v62
	v_mul_f16_e64 v62, v102, v150
	v_fma_f16 v92, v63, v47, -v92
	v_fma_f16 v79, v65, v46, -v79
	v_mul_f16_e64 v65, v65, v145
	ds_store_2addr_b32 v76, v60, v58 offset0:192 offset1:252
	v_mul_f16_e64 v76, v64, v148
	v_lshrrev_b32_e32 v58, 16, v102
	v_fma_f16 v94, v61, v189, -v94
	v_mul_f16_e32 v61, v61, v95
	v_mul_f16_e64 v63, v63, v141
	v_fma_f16 v76, v104, v45, -v76
	v_mul_f16_e64 v60, v58, v150
	v_fmac_f16_e32 v62, v58, v44
	v_fmac_f16_e32 v77, v64, v45
	;; [unrolled: 1-line block ×3, first 2 shown]
	v_add_f16_e32 v58, v76, v92
	v_fma_f16 v60, v102, v44, -v60
	v_fmac_f16_e64 v61, v93, v189
	v_lshrrev_b32_e32 v64, 16, v59
	v_add_f16_e32 v78, v59, v76
	v_fmac_f16_e32 v59, -0.5, v58
	v_add_f16_e32 v58, v79, v94
	v_fmac_f16_e32 v63, v80, v47
	v_add_f16_e32 v80, v60, v79
	v_add_f16_e32 v93, v62, v65
	v_add_f16_e32 v95, v64, v77
	v_fmac_f16_e32 v60, -0.5, v58
	v_add_f16_e32 v58, v65, v61
	v_sub_f16_e32 v65, v65, v61
	v_add_f16_e32 v61, v93, v61
	s_delay_alu instid0(VALU_DEP_3) | instskip(SKIP_3) | instid1(VALU_DEP_3)
	v_fmac_f16_e32 v62, -0.5, v58
	v_add_f16_e32 v58, v77, v63
	v_sub_f16_e32 v77, v77, v63
	v_add_f16_e32 v63, v95, v63
	v_fmac_f16_e32 v64, -0.5, v58
	v_sub_f16_e32 v58, v76, v92
	v_add_f16_e32 v76, v78, v92
	v_sub_f16_e32 v78, v79, v94
	v_add_f16_e32 v79, v80, v94
	v_fmamk_f16 v92, v65, 0x3aee, v60
	v_fmac_f16_e32 v60, 0xbaee, v65
	v_fmamk_f16 v95, v58, 0xbaee, v64
	v_fmamk_f16 v80, v78, 0xbaee, v62
	v_fmac_f16_e32 v62, 0x3aee, v78
	v_fmac_f16_e32 v64, 0x3aee, v58
	v_mul_f16_e32 v58, -0.5, v60
	v_add_f16_e32 v94, v63, v61
	v_mul_f16_e32 v93, 0x3aee, v80
	v_sub_f16_e32 v61, v63, v61
	s_delay_alu instid0(VALU_DEP_4) | instskip(SKIP_1) | instid1(VALU_DEP_4)
	v_fmac_f16_e32 v58, 0x3aee, v62
	v_mul_f16_e32 v62, -0.5, v62
	v_fmac_f16_e32 v93, 0.5, v92
	v_mul_f16_e32 v92, 0xbaee, v92
	s_delay_alu instid0(VALU_DEP_3) | instskip(SKIP_1) | instid1(VALU_DEP_3)
	v_fmac_f16_e32 v62, 0xbaee, v60
	v_sub_f16_e32 v60, v76, v79
	v_fmac_f16_e32 v92, 0.5, v80
	v_add_f16_e32 v80, v76, v79
	v_lshrrev_b32_e32 v76, 16, v186
	v_add_f16_e32 v65, v64, v62
	v_pack_b32_f16 v60, v60, v61
	v_add_f16_e32 v97, v95, v92
	v_pack_b32_f16 v80, v80, v94
	v_fmamk_f16 v94, v77, 0x3aee, v59
	v_fmac_f16_e32 v59, 0xbaee, v77
	v_sub_f16_e32 v61, v64, v62
	v_lshrrev_b32_e32 v62, 16, v14
	v_mul_f16_e64 v77, v56, v170
	v_add_f16_e32 v96, v94, v93
	v_add_f16_e32 v63, v59, v58
	v_sub_f16_e32 v58, v59, v58
	v_sub_f16_e32 v59, v94, v93
	s_delay_alu instid0(VALU_DEP_4)
	v_pack_b32_f16 v96, v96, v97
	v_add_nc_u32_e32 v97, 0x1000, v98
	v_pack_b32_f16 v63, v63, v65
	v_pack_b32_f16 v58, v58, v61
	v_mul_f16_e64 v61, v38, v155
	v_mul_f16_e32 v65, v36, v76
	ds_store_2addr_b32 v97, v80, v96 offset0:56 offset1:116
	ds_store_2addr_b32 v97, v63, v60 offset0:176 offset1:236
	v_sub_f16_e32 v60, v95, v92
	s_delay_alu instid0(VALU_DEP_1)
	v_pack_b32_f16 v59, v59, v60
	v_add_nc_u32_e32 v60, 0x1400, v98
	ds_store_2addr_b32 v60, v59, v58 offset0:40 offset1:100
	v_lshrrev_b32_e32 v58, 16, v54
	v_mul_f16_e64 v59, v54, v158
	v_lshrrev_b32_e32 v60, 16, v38
	s_delay_alu instid0(VALU_DEP_2) | instskip(SKIP_1) | instid1(VALU_DEP_3)
	v_fmac_f16_e32 v59, v58, v41
	v_mul_f16_e64 v58, v58, v158
	v_fmac_f16_e32 v61, v60, v43
	v_mul_f16_e64 v60, v60, v155
	s_delay_alu instid0(VALU_DEP_4) | instskip(NEXT) | instid1(VALU_DEP_4)
	v_add_f16_e32 v64, v62, v59
	v_fma_f16 v54, v54, v41, -v58
	s_delay_alu instid0(VALU_DEP_4) | instskip(NEXT) | instid1(VALU_DEP_4)
	v_add_f16_e32 v63, v59, v61
	v_fma_f16 v38, v38, v43, -v60
	s_delay_alu instid0(VALU_DEP_3) | instskip(NEXT) | instid1(VALU_DEP_3)
	v_add_f16_e32 v58, v14, v54
	v_fmac_f16_e32 v62, -0.5, v63
	s_delay_alu instid0(VALU_DEP_3) | instskip(SKIP_1) | instid1(VALU_DEP_4)
	v_add_f16_e32 v60, v54, v38
	v_mul_f16_e64 v63, v52, v160
	v_add_f16_e32 v58, v58, v38
	v_sub_f16_e32 v38, v54, v38
	v_sub_f16_e32 v54, v59, v61
	v_add_f16_e32 v59, v64, v61
	v_lshrrev_b32_e32 v61, 16, v52
	v_lshrrev_b32_e32 v64, 16, v36
	v_fma_f16 v14, -0.5, v60, v14
	s_delay_alu instid0(VALU_DEP_3) | instskip(SKIP_1) | instid1(VALU_DEP_4)
	v_fmac_f16_e32 v63, v61, v42
	v_mul_f16_e64 v61, v61, v160
	v_fmac_f16_e64 v65, v64, v186
	v_mul_f16_e32 v64, v64, v76
	v_lshrrev_b32_e32 v76, 16, v56
	v_fmamk_f16 v60, v54, 0x3aee, v14
	v_fma_f16 v52, v52, v42, -v61
	v_fmac_f16_e32 v14, 0xbaee, v54
	v_fma_f16 v36, v36, v186, -v64
	v_fmac_f16_e32 v77, v76, v40
	v_mul_f16_e64 v76, v76, v170
	s_delay_alu instid0(VALU_DEP_3) | instskip(NEXT) | instid1(VALU_DEP_2)
	v_add_f16_e32 v61, v52, v36
	v_fma_f16 v56, v56, v40, -v76
	s_delay_alu instid0(VALU_DEP_4) | instskip(NEXT) | instid1(VALU_DEP_2)
	v_add_f16_e32 v76, v77, v63
	v_add_f16_e32 v64, v56, v52
	s_delay_alu instid0(VALU_DEP_4) | instskip(SKIP_2) | instid1(VALU_DEP_4)
	v_fmac_f16_e32 v56, -0.5, v61
	v_add_f16_e32 v61, v63, v65
	v_sub_f16_e32 v52, v52, v36
	v_add_f16_e32 v36, v64, v36
	s_delay_alu instid0(VALU_DEP_3) | instskip(SKIP_2) | instid1(VALU_DEP_3)
	v_fmac_f16_e32 v77, -0.5, v61
	v_sub_f16_e32 v61, v63, v65
	v_add_f16_e32 v63, v76, v65
	v_fmamk_f16 v64, v52, 0xbaee, v77
	s_delay_alu instid0(VALU_DEP_3) | instskip(NEXT) | instid1(VALU_DEP_3)
	v_fmamk_f16 v65, v61, 0x3aee, v56
	v_add_f16_e32 v78, v59, v63
	v_fmac_f16_e32 v56, 0xbaee, v61
	v_fmac_f16_e32 v77, 0x3aee, v52
	v_mul_f16_e32 v76, 0x3aee, v64
	v_sub_f16_e32 v54, v59, v63
	s_delay_alu instid0(VALU_DEP_3) | instskip(NEXT) | instid1(VALU_DEP_3)
	v_mul_f16_e32 v52, -0.5, v77
	v_fmac_f16_e32 v76, 0.5, v65
	v_mul_f16_e32 v65, 0xbaee, v65
	s_delay_alu instid0(VALU_DEP_3) | instskip(NEXT) | instid1(VALU_DEP_3)
	v_fmac_f16_e32 v52, 0xbaee, v56
	v_add_f16_e32 v79, v60, v76
	s_delay_alu instid0(VALU_DEP_3) | instskip(SKIP_2) | instid1(VALU_DEP_2)
	v_fmac_f16_e32 v65, 0.5, v64
	v_add_f16_e32 v64, v58, v36
	v_sub_f16_e32 v36, v58, v36
	v_pack_b32_f16 v64, v64, v78
	v_fmamk_f16 v78, v38, 0xbaee, v62
	v_fmac_f16_e32 v62, 0x3aee, v38
	v_mul_f16_e32 v38, -0.5, v56
	v_pack_b32_f16 v36, v36, v54
	s_delay_alu instid0(VALU_DEP_4) | instskip(NEXT) | instid1(VALU_DEP_4)
	v_add_f16_e32 v80, v78, v65
	v_add_f16_e32 v58, v62, v52
	s_delay_alu instid0(VALU_DEP_4)
	v_fmac_f16_e32 v38, 0x3aee, v77
	v_sub_f16_e32 v52, v62, v52
	v_lshrrev_b32_e32 v62, 16, v184
	v_pack_b32_f16 v79, v79, v80
	v_lshlrev_b32_e32 v80, 2, v75
	scratch_store_b32 off, v98, off offset:180 ; 4-byte Folded Spill
	v_add_f16_e32 v56, v14, v38
	v_sub_f16_e32 v14, v14, v38
	v_sub_f16_e32 v38, v78, v65
	v_add_nc_u32_e32 v54, 0x1800, v80
	v_add_nc_u32_e32 v75, 0x1400, v80
	v_pack_b32_f16 v56, v56, v58
	v_pack_b32_f16 v14, v14, v52
	v_lshrrev_b32_e32 v52, 16, v55
	v_lshrrev_b32_e32 v58, 16, v39
	ds_store_2addr_b32 v75, v64, v79 offset0:160 offset1:220
	ds_store_2addr_b32 v54, v56, v36 offset0:24 offset1:84
	v_sub_f16_e32 v36, v60, v76
	v_lshrrev_b32_e32 v56, 16, v53
	v_mul_f16_e32 v59, v58, v116
	v_lshrrev_b32_e32 v60, 16, v37
	s_delay_alu instid0(VALU_DEP_4) | instskip(SKIP_1) | instid1(VALU_DEP_4)
	v_pack_b32_f16 v36, v36, v38
	v_mul_f16_e32 v38, v57, v120
	v_fma_f16 v59, v39, v27, -v59
	s_delay_alu instid0(VALU_DEP_4)
	v_mul_f16_e32 v61, v60, v62
	v_mul_f16_e32 v39, v39, v116
	ds_store_2addr_b32 v54, v36, v14 offset0:144 offset1:204
	v_lshrrev_b32_e32 v14, 16, v57
	v_mul_f16_e32 v54, v52, v119
	v_fma_f16 v61, v37, v184, -v61
	v_mul_f16_e32 v37, v37, v62
	v_fmac_f16_e32 v39, v58, v27
	v_mul_f16_e32 v36, v14, v120
	v_fma_f16 v54, v55, v25, -v54
	v_mul_f16_e32 v55, v55, v119
	v_fmac_f16_e32 v38, v14, v24
	v_fmac_f16_e64 v37, v60, v184
	v_fma_f16 v36, v57, v24, -v36
	v_mul_f16_e32 v57, v56, v118
	v_add_f16_e32 v14, v54, v59
	v_fmac_f16_e32 v55, v52, v25
	v_lshrrev_b32_e32 v52, 16, v15
	s_delay_alu instid0(VALU_DEP_4) | instskip(SKIP_1) | instid1(VALU_DEP_3)
	v_fma_f16 v57, v53, v26, -v57
	v_mul_f16_e32 v53, v53, v118
	v_add_f16_e32 v62, v52, v55
	s_delay_alu instid0(VALU_DEP_3) | instskip(NEXT) | instid1(VALU_DEP_3)
	v_add_f16_e32 v58, v36, v57
	v_fmac_f16_e32 v53, v56, v26
	v_add_f16_e32 v56, v15, v54
	v_fmac_f16_e32 v15, -0.5, v14
	v_add_f16_e32 v14, v57, v61
	s_delay_alu instid0(VALU_DEP_4) | instskip(NEXT) | instid1(VALU_DEP_2)
	v_add_f16_e32 v60, v38, v53
	v_fmac_f16_e32 v36, -0.5, v14
	v_add_f16_e32 v14, v53, v37
	v_sub_f16_e32 v53, v53, v37
	s_delay_alu instid0(VALU_DEP_4) | instskip(NEXT) | instid1(VALU_DEP_3)
	v_add_f16_e32 v37, v60, v37
	v_fmac_f16_e32 v38, -0.5, v14
	v_add_f16_e32 v14, v55, v39
	v_sub_f16_e32 v55, v55, v39
	v_add_f16_e32 v39, v62, v39
	s_delay_alu instid0(VALU_DEP_3)
	v_fmac_f16_e32 v52, -0.5, v14
	v_sub_f16_e32 v14, v54, v59
	v_add_f16_e32 v54, v56, v59
	v_sub_f16_e32 v56, v57, v61
	v_add_f16_e32 v57, v58, v61
	v_fmamk_f16 v59, v53, 0x3aee, v36
	v_add_f16_e32 v61, v39, v37
	v_fmac_f16_e32 v36, 0xbaee, v53
	v_fmamk_f16 v58, v56, 0xbaee, v38
	v_fmamk_f16 v62, v14, 0xbaee, v52
	v_fmac_f16_e32 v38, 0x3aee, v56
	v_fmac_f16_e32 v52, 0x3aee, v14
	v_mul_f16_e32 v14, -0.5, v36
	v_mul_f16_e32 v60, 0x3aee, v58
	v_sub_f16_e32 v37, v39, v37
	s_delay_alu instid0(VALU_DEP_3) | instskip(NEXT) | instid1(VALU_DEP_3)
	v_fmac_f16_e32 v14, 0x3aee, v38
	v_fmac_f16_e32 v60, 0.5, v59
	v_mul_f16_e32 v59, 0xbaee, v59
	v_mul_f16_e32 v38, -0.5, v38
	s_delay_alu instid0(VALU_DEP_2) | instskip(SKIP_1) | instid1(VALU_DEP_3)
	v_fmac_f16_e32 v59, 0.5, v58
	v_add_f16_e32 v58, v54, v57
	v_fmac_f16_e32 v38, 0xbaee, v36
	v_sub_f16_e32 v36, v54, v57
	s_delay_alu instid0(VALU_DEP_4) | instskip(NEXT) | instid1(VALU_DEP_4)
	v_add_f16_e32 v64, v62, v59
	v_pack_b32_f16 v58, v58, v61
	v_fmamk_f16 v61, v55, 0x3aee, v15
	v_fmac_f16_e32 v15, 0xbaee, v55
	v_add_f16_e32 v53, v52, v38
	v_pack_b32_f16 v36, v36, v37
	v_sub_f16_e32 v37, v52, v38
	v_add_f16_e32 v63, v61, v60
	v_add_f16_e32 v39, v15, v14
	v_sub_f16_e32 v14, v15, v14
	v_sub_f16_e32 v15, v61, v60
	v_mad_co_u64_u32 v[60:61], null, v66, 20, s[0:1]
	v_pack_b32_f16 v63, v63, v64
	v_and_b32_e32 v64, 0xffff, v67
	v_pack_b32_f16 v39, v39, v53
	v_pack_b32_f16 v14, v14, v37
	s_add_nc_u64 s[0:1], s[8:9], 0x21c0
	s_delay_alu instid0(VALU_DEP_3)
	v_lshlrev_b32_e32 v65, 2, v64
	s_clause 0x1
	scratch_store_b32 off, v80, off offset:184
	scratch_store_b32 off, v65, off offset:188
	v_add_nc_u32_e32 v64, 0x1c00, v65
	ds_store_2addr_b32 v64, v39, v36 offset0:128 offset1:188
	v_sub_f16_e32 v36, v62, v59
	ds_store_2addr_b32 v64, v58, v63 offset0:8 offset1:68
	v_pack_b32_f16 v15, v15, v36
	v_add_nc_u32_e32 v36, 0x1e00, v65
	ds_store_2addr_b32 v36, v15, v14 offset0:120 offset1:180
	global_wb scope:SCOPE_SE
	s_wait_storecnt_dscnt 0x0
	s_barrier_signal -1
	s_barrier_wait -1
	global_inv scope:SCOPE_SE
	s_clause 0x1
	global_load_b32 v205, v[12:13], off offset:1416
	global_load_b128 v[12:15], v[12:13], off offset:1400
	ds_load_2addr_b32 v[52:53], v81 offset0:104 offset1:164
	s_wait_dscnt 0x0
	v_lshrrev_b32_e32 v36, 16, v52
	v_lshrrev_b32_e32 v56, 16, v53
	s_wait_loadcnt 0x1
	v_lshrrev_b32_e32 v96, 16, v205
	s_wait_loadcnt 0x0
	v_lshrrev_b32_e32 v37, 16, v12
	v_lshrrev_b32_e32 v244, 16, v13
	;; [unrolled: 1-line block ×4, first 2 shown]
	s_delay_alu instid0(VALU_DEP_4) | instskip(NEXT) | instid1(VALU_DEP_1)
	v_mul_f16_e32 v54, v52, v37
	v_fmac_f16_e32 v54, v36, v12
	v_mul_f16_e32 v36, v36, v37
	s_delay_alu instid0(VALU_DEP_1)
	v_fma_f16 v55, v52, v12, -v36
	s_clause 0x1
	global_load_b32 v220, v[60:61], off offset:1416
	global_load_b128 v[36:39], v[60:61], off offset:1400
	s_wait_loadcnt 0x1
	v_lshrrev_b32_e32 v97, 16, v220
	s_wait_loadcnt 0x0
	v_lshrrev_b32_e32 v240, 16, v36
	v_lshrrev_b32_e32 v241, 16, v37
	;; [unrolled: 1-line block ×4, first 2 shown]
	s_delay_alu instid0(VALU_DEP_4) | instskip(SKIP_1) | instid1(VALU_DEP_2)
	v_mul_f16_e64 v52, v56, v240
	v_mul_f16_e64 v63, v53, v240
	v_fma_f16 v62, v53, v36, -v52
	ds_load_2addr_b32 v[52:53], v83 offset0:80 offset1:140
	v_fmac_f16_e32 v63, v56, v36
	s_wait_dscnt 0x0
	v_lshrrev_b32_e32 v57, 16, v52
	v_mul_f16_e64 v58, v52, v244
	v_lshrrev_b32_e32 v59, 16, v53
	v_mul_f16_e64 v65, v53, v241
	s_delay_alu instid0(VALU_DEP_3) | instskip(SKIP_1) | instid1(VALU_DEP_3)
	v_fmac_f16_e32 v58, v57, v13
	v_mul_f16_e64 v57, v57, v244
	v_fmac_f16_e32 v65, v59, v37
	s_delay_alu instid0(VALU_DEP_2) | instskip(SKIP_1) | instid1(VALU_DEP_1)
	v_fma_f16 v57, v52, v13, -v57
	v_mul_f16_e64 v52, v59, v241
	v_fma_f16 v64, v53, v37, -v52
	ds_load_2addr_b32 v[52:53], v84 offset0:56 offset1:116
	s_wait_dscnt 0x0
	v_lshrrev_b32_e32 v66, 16, v52
	v_mul_f16_e64 v79, v52, v245
	v_lshrrev_b32_e32 v75, 16, v53
	v_mul_f16_e64 v77, v53, v242
	s_delay_alu instid0(VALU_DEP_3) | instskip(SKIP_1) | instid1(VALU_DEP_3)
	v_fmac_f16_e32 v79, v66, v14
	v_mul_f16_e64 v66, v66, v245
	v_fmac_f16_e32 v77, v75, v38
	s_delay_alu instid0(VALU_DEP_3) | instskip(NEXT) | instid1(VALU_DEP_3)
	v_add_f16_e32 v103, v54, v79
	v_fma_f16 v80, v52, v14, -v66
	v_mul_f16_e64 v52, v75, v242
	s_delay_alu instid0(VALU_DEP_4) | instskip(NEXT) | instid1(VALU_DEP_3)
	v_add_f16_e32 v59, v63, v77
	v_add_f16_e32 v102, v55, v80
	s_delay_alu instid0(VALU_DEP_3)
	v_fma_f16 v76, v53, v38, -v52
	ds_load_2addr_b32 v[52:53], v82 offset0:160 offset1:220
	v_add_f16_e32 v56, v62, v76
	s_wait_dscnt 0x0
	v_lshrrev_b32_e32 v66, 16, v52
	v_mul_f16_e64 v92, v52, v246
	v_lshrrev_b32_e32 v78, 16, v53
	v_mul_f16_e64 v67, v53, v243
	s_delay_alu instid0(VALU_DEP_3) | instskip(SKIP_1) | instid1(VALU_DEP_3)
	v_fmac_f16_e32 v92, v66, v15
	v_mul_f16_e64 v66, v66, v246
	v_fmac_f16_e32 v67, v78, v39
	s_delay_alu instid0(VALU_DEP_3) | instskip(NEXT) | instid1(VALU_DEP_3)
	v_sub_f16_e32 v100, v58, v92
	v_fma_f16 v93, v52, v15, -v66
	v_mul_f16_e64 v52, v78, v243
	s_delay_alu instid0(VALU_DEP_2) | instskip(NEXT) | instid1(VALU_DEP_2)
	v_add_f16_e32 v78, v57, v93
	v_fma_f16 v66, v53, v39, -v52
	ds_load_2addr_b32 v[52:53], v85 offset0:8 offset1:68
	s_wait_dscnt 0x0
	v_lshrrev_b32_e32 v94, 16, v52
	v_mul_f16_e32 v95, v52, v96
	s_delay_alu instid0(VALU_DEP_1) | instskip(SKIP_1) | instid1(VALU_DEP_1)
	v_fmac_f16_e64 v95, v94, v205
	v_mul_f16_e32 v94, v94, v96
	v_fma_f16 v94, v52, v205, -v94
	v_lshrrev_b32_e32 v52, 16, v53
	s_delay_alu instid0(VALU_DEP_1) | instskip(SKIP_1) | instid1(VALU_DEP_2)
	v_mul_f16_e32 v96, v52, v97
	v_mul_f16_e32 v97, v53, v97
	v_fma_f16 v96, v53, v220, -v96
	s_delay_alu instid0(VALU_DEP_2) | instskip(NEXT) | instid1(VALU_DEP_2)
	v_fmac_f16_e64 v97, v52, v220
	v_add_f16_e32 v52, v76, v96
	v_sub_f16_e32 v76, v76, v96
	v_add_f16_e32 v114, v56, v96
	s_delay_alu instid0(VALU_DEP_4) | instskip(NEXT) | instid1(VALU_DEP_4)
	v_add_f16_e32 v122, v59, v97
	v_fmac_f16_e32 v62, -0.5, v52
	v_add_f16_e32 v52, v77, v97
	s_delay_alu instid0(VALU_DEP_1) | instskip(SKIP_2) | instid1(VALU_DEP_3)
	v_fmac_f16_e32 v63, -0.5, v52
	v_sub_f16_e32 v52, v77, v97
	v_add_f16_e32 v77, v64, v66
	v_fmamk_f16 v112, v76, 0xbaee, v63
	s_delay_alu instid0(VALU_DEP_3)
	v_fmamk_f16 v110, v52, 0x3aee, v62
	v_fmac_f16_e32 v62, 0xbaee, v52
	ds_load_2addr_b32 v[52:53], v111 offset1:60
	v_fmac_f16_e32 v63, 0x3aee, v76
	s_wait_dscnt 0x0
	v_lshrrev_b32_e32 v75, 16, v53
	v_add_f16_e32 v98, v53, v64
	v_fmac_f16_e32 v53, -0.5, v77
	v_sub_f16_e32 v77, v65, v67
	v_fma_f16 v99, -0.5, v78, v52
	v_sub_f16_e32 v64, v64, v66
	v_add_f16_e64 v129, v98, v66
	v_mul_f16_e32 v66, 0xbaee, v110
	v_fmamk_f16 v76, v77, 0x3aee, v53
	v_fmac_f16_e32 v53, 0xbaee, v77
	v_mul_f16_e32 v77, -0.5, v62
	v_fmamk_f16 v101, v100, 0x3aee, v99
	v_fmac_f16_e32 v99, 0xbaee, v100
	v_add_f16_e32 v100, v80, v94
	v_fmac_f16_e32 v66, 0.5, v112
	v_fmac_f16_e32 v77, 0x3aee, v63
	v_mul_f16_e32 v63, -0.5, v63
	s_delay_alu instid0(VALU_DEP_4) | instskip(SKIP_1) | instid1(VALU_DEP_4)
	v_fmac_f16_e32 v55, -0.5, v100
	v_add_f16_e32 v100, v79, v95
	v_add_f16_e32 v78, v53, v77
	v_sub_f16_e32 v77, v53, v77
	v_lshrrev_b32_e32 v53, 16, v52
	v_add_f16_e32 v52, v52, v57
	v_sub_f16_e32 v79, v79, v95
	v_fmac_f16_e32 v54, -0.5, v100
	v_sub_f16_e32 v57, v57, v93
	v_add_f16_e32 v100, v58, v92
	v_add_f16_e32 v52, v52, v93
	v_fmamk_f16 v93, v79, 0x3aee, v55
	v_fmac_f16_e32 v55, 0xbaee, v79
	v_sub_f16_e32 v79, v80, v94
	v_add_f16_e32 v58, v53, v58
	v_fmac_f16_e32 v53, -0.5, v100
	v_fmac_f16_e32 v63, 0xbaee, v62
	s_delay_alu instid0(VALU_DEP_4)
	v_fmamk_f16 v80, v79, 0xbaee, v54
	v_fmac_f16_e32 v54, 0x3aee, v79
	v_add_f16_e32 v79, v102, v94
	v_add_f16_e32 v58, v58, v92
	v_fmamk_f16 v92, v57, 0xbaee, v53
	v_mul_f16_e32 v94, 0x3aee, v80
	v_fmac_f16_e32 v53, 0x3aee, v57
	v_add_f16_e32 v57, v103, v95
	s_delay_alu instid0(VALU_DEP_3) | instskip(SKIP_1) | instid1(VALU_DEP_1)
	v_fmac_f16_e32 v94, 0.5, v93
	v_mul_f16_e32 v93, 0xbaee, v93
	v_fmac_f16_e32 v93, 0.5, v80
	v_mul_f16_e32 v80, -0.5, v55
	s_delay_alu instid0(VALU_DEP_1) | instskip(SKIP_1) | instid1(VALU_DEP_2)
	v_fmac_f16_e32 v80, 0x3aee, v54
	v_mul_f16_e32 v54, -0.5, v54
	v_add_f16_e32 v95, v99, v80
	s_delay_alu instid0(VALU_DEP_2)
	v_fmac_f16_e32 v54, 0xbaee, v55
	v_add_f16_e32 v55, v52, v79
	v_sub_f16_e32 v52, v52, v79
	v_add_f16_e32 v79, v101, v94
	v_sub_f16_e32 v80, v99, v80
	;; [unrolled: 2-line block ×5, first 2 shown]
	v_pack_b32_f16 v54, v55, v99
	v_pack_b32_f16 v55, v79, v58
	v_add_f16_e32 v58, v75, v65
	v_sub_f16_e32 v94, v101, v94
	v_pack_b32_f16 v56, v95, v93
	v_pack_b32_f16 v52, v52, v57
	;; [unrolled: 1-line block ×3, first 2 shown]
	v_add_f16_e64 v133, v58, v67
	v_add_f16_e64 v58, v129, v114
	v_pack_b32_f16 v57, v94, v92
	ds_load_2addr_b32 v[79:80], v111 offset0:120 offset1:180
	ds_load_2addr_b32 v[92:93], v84 offset0:176 offset1:236
	ds_store_b32 v111, v55 offset:1440
	v_add_f16_e64 v59, v133, v122
	ds_load_2addr_b32 v[94:95], v90 offset0:96 offset1:156
	ds_load_2addr_b32 v[96:97], v87 offset0:72 offset1:132
	;; [unrolled: 1-line block ×10, first 2 shown]
	v_add_f16_e32 v65, v65, v67
	v_sub_f16_e64 v67, v129, v114
	v_pack_b32_f16 v58, v58, v59
	ds_store_b32 v111, v56 offset:2880
	ds_store_b32 v111, v52 offset:4320
	;; [unrolled: 1-line block ×4, first 2 shown]
	ds_store_2addr_b32 v111, v54, v58 offset1:60
	s_clause 0x1
	global_load_b32 v223, v[60:61], off offset:2616
	global_load_b128 v[56:59], v[60:61], off offset:2600
	v_fmac_f16_e32 v75, -0.5, v65
	v_mul_f16_e32 v65, 0x3aee, v112
	s_wait_dscnt 0xe
	v_lshrrev_b32_e32 v135, 16, v94
	v_lshrrev_b32_e32 v136, 16, v95
	s_wait_dscnt 0xc
	v_lshrrev_b32_e32 v163, 16, v99
	v_fmac_f16_e32 v65, 0.5, v110
	v_sub_f16_e64 v110, v133, v122
	v_lshrrev_b32_e32 v122, 16, v80
	v_lshrrev_b32_e32 v147, 16, v93
	s_delay_alu instid0(VALU_DEP_4) | instskip(NEXT) | instid1(VALU_DEP_4)
	v_add_f16_e64 v211, v76, v65
	v_pack_b32_f16 v67, v67, v110
	v_sub_f16_e32 v65, v76, v65
	s_wait_loadcnt 0x1
	v_lshrrev_b32_e32 v173, 16, v223
	s_wait_loadcnt 0x0
	v_lshrrev_b32_e32 v151, 16, v56
	v_lshrrev_b32_e32 v152, 16, v57
	v_lshrrev_b32_e32 v153, 16, v58
	v_lshrrev_b32_e32 v154, 16, v59
	s_wait_dscnt 0xb
	v_mul_f16_e64 v168, v100, v173
	v_mul_f16_e64 v52, v135, v151
	;; [unrolled: 1-line block ×5, first 2 shown]
	s_delay_alu instid0(VALU_DEP_4) | instskip(SKIP_4) | instid1(VALU_DEP_1)
	v_fma_f16 v138, v94, v56, -v52
	s_clause 0x1
	global_load_b32 v212, v[60:61], off offset:3816
	global_load_b128 v[52:55], v[60:61], off offset:3800
	v_mul_f16_e64 v94, v94, v151
	v_fmac_f16_e64 v94, v135, v56
	v_lshrrev_b32_e32 v135, 16, v96
	s_delay_alu instid0(VALU_DEP_1) | instskip(SKIP_1) | instid1(VALU_DEP_1)
	v_fmac_f16_e64 v142, v135, v57
	v_mul_f16_e64 v135, v135, v152
	v_fma_f16 v96, v96, v57, -v135
	v_lshrrev_b32_e32 v135, 16, v97
	s_wait_loadcnt 0x1
	v_lshrrev_b32_e32 v174, 16, v212
	s_wait_loadcnt 0x0
	v_lshrrev_b32_e32 v134, 16, v52
	s_delay_alu instid0(VALU_DEP_1) | instskip(NEXT) | instid1(VALU_DEP_1)
	v_mul_f16_e64 v137, v136, v134
	v_fma_f16 v140, v95, v52, -v137
	v_mul_f16_e64 v95, v95, v134
	s_delay_alu instid0(VALU_DEP_1) | instskip(SKIP_1) | instid1(VALU_DEP_1)
	v_fmac_f16_e64 v95, v136, v52
	v_lshrrev_b32_e32 v136, 16, v53
	v_mul_f16_e64 v137, v135, v136
	s_delay_alu instid0(VALU_DEP_1) | instskip(SKIP_2) | instid1(VALU_DEP_3)
	v_fma_f16 v143, v97, v53, -v137
	v_lshrrev_b32_e32 v137, 16, v92
	v_mul_f16_e64 v97, v97, v136
	v_add_f16_e64 v114, v80, v143
	s_delay_alu instid0(VALU_DEP_3) | instskip(SKIP_1) | instid1(VALU_DEP_4)
	v_fmac_f16_e64 v146, v137, v58
	v_mul_f16_e64 v137, v137, v153
	v_fmac_f16_e64 v97, v135, v53
	s_delay_alu instid0(VALU_DEP_2) | instskip(SKIP_1) | instid1(VALU_DEP_1)
	v_fma_f16 v92, v92, v58, -v137
	v_lshrrev_b32_e32 v137, 16, v54
	v_mul_f16_e64 v139, v147, v137
	s_delay_alu instid0(VALU_DEP_1) | instskip(SKIP_2) | instid1(VALU_DEP_3)
	v_fma_f16 v149, v93, v54, -v139
	v_lshrrev_b32_e32 v139, 16, v98
	v_mul_f16_e64 v93, v93, v137
	v_add_f16_e64 v133, v140, v149
	s_delay_alu instid0(VALU_DEP_3) | instskip(SKIP_1) | instid1(VALU_DEP_4)
	v_fmac_f16_e64 v162, v139, v59
	v_mul_f16_e64 v139, v139, v154
	v_fmac_f16_e64 v93, v147, v54
	s_delay_alu instid0(VALU_DEP_3) | instskip(NEXT) | instid1(VALU_DEP_3)
	v_sub_f16_e64 v110, v142, v162
	v_fma_f16 v98, v98, v59, -v139
	v_lshrrev_b32_e32 v139, 16, v55
	s_delay_alu instid0(VALU_DEP_1) | instskip(NEXT) | instid1(VALU_DEP_1)
	v_mul_f16_e64 v165, v163, v139
	v_fma_f16 v193, v99, v55, -v165
	v_lshrrev_b32_e32 v165, 16, v100
	v_mul_f16_e64 v99, v99, v139
	s_delay_alu instid0(VALU_DEP_3) | instskip(NEXT) | instid1(VALU_DEP_3)
	v_add_f16_e64 v112, v143, v193
	v_fmac_f16_e64 v168, v165, v223
	v_mul_f16_e64 v165, v165, v173
	s_delay_alu instid0(VALU_DEP_4) | instskip(NEXT) | instid1(VALU_DEP_4)
	v_fmac_f16_e64 v99, v163, v55
	v_fmac_f16_e32 v80, -0.5, v112
	s_delay_alu instid0(VALU_DEP_3) | instskip(SKIP_1) | instid1(VALU_DEP_4)
	v_fma_f16 v100, v100, v223, -v165
	v_lshrrev_b32_e32 v165, 16, v101
	v_sub_f16_e32 v112, v97, v99
	s_delay_alu instid0(VALU_DEP_2) | instskip(NEXT) | instid1(VALU_DEP_2)
	v_mul_f16_e64 v173, v165, v174
	v_fma_f16 v129, 0x3aee, v112, v80
	v_fmac_f16_e32 v80, 0xbaee, v112
	s_delay_alu instid0(VALU_DEP_3) | instskip(SKIP_2) | instid1(VALU_DEP_3)
	v_fma_f16 v173, v101, v212, -v173
	v_mul_f16_e64 v101, v101, v174
	v_add_f16_e64 v174, v94, v146
	v_add_f16_e64 v112, v149, v173
	s_delay_alu instid0(VALU_DEP_3) | instskip(SKIP_1) | instid1(VALU_DEP_3)
	v_fmac_f16_e64 v101, v165, v212
	v_add_f16_e64 v165, v138, v92
	v_fmac_f16_e64 v140, -0.5, v112
	s_delay_alu instid0(VALU_DEP_3) | instskip(NEXT) | instid1(VALU_DEP_1)
	v_sub_f16_e32 v112, v93, v101
	v_fma_f16 v135, 0x3aee, v112, v140
	v_fmac_f16_e64 v140, 0xbaee, v112
	v_add_f16_e32 v112, v93, v101
	v_add_f16_e32 v93, v95, v93
	s_delay_alu instid0(VALU_DEP_2) | instskip(SKIP_2) | instid1(VALU_DEP_4)
	v_fmac_f16_e32 v95, -0.5, v112
	v_sub_f16_e64 v112, v149, v173
	v_add_f16_e64 v149, v96, v98
	v_add_f16_e32 v93, v93, v101
	s_delay_alu instid0(VALU_DEP_3) | instskip(SKIP_3) | instid1(VALU_DEP_2)
	v_fma_f16 v147, 0xbaee, v112, v95
	v_fmac_f16_e32 v95, 0x3aee, v112
	v_mul_f16_e64 v112, -0.5, v140
	v_fma_f16 v149, -0.5, v149, v79
	v_fmac_f16_e32 v112, 0x3aee, v95
	v_mul_f16_e32 v95, -0.5, v95
	s_delay_alu instid0(VALU_DEP_2)
	v_add_f16_e64 v197, v80, v112
	v_sub_f16_e64 v198, v80, v112
	v_lshrrev_b32_e32 v80, 16, v79
	v_add_f16_e64 v112, v142, v162
	v_add_f16_e32 v79, v79, v96
	v_sub_f16_e32 v96, v96, v98
	v_fmac_f16_e64 v95, 0xbaee, v140
	v_add_f16_e64 v163, v80, v142
	v_fmac_f16_e32 v80, -0.5, v112
	v_add_f16_e32 v112, v92, v100
	v_sub_f16_e32 v92, v92, v100
	v_fma_f16 v142, 0x3aee, v110, v149
	v_fmac_f16_e64 v149, 0xbaee, v110
	s_delay_alu instid0(VALU_DEP_4) | instskip(SKIP_1) | instid1(VALU_DEP_1)
	v_fmac_f16_e64 v138, -0.5, v112
	v_add_f16_e64 v112, v146, v168
	v_fmac_f16_e32 v94, -0.5, v112
	v_sub_f16_e64 v112, v146, v168
	s_delay_alu instid0(VALU_DEP_2) | instskip(NEXT) | instid1(VALU_DEP_2)
	v_fma_f16 v146, 0xbaee, v92, v94
	v_fma_f16 v199, 0x3aee, v112, v138
	v_fmac_f16_e64 v138, 0xbaee, v112
	v_fmac_f16_e32 v94, 0x3aee, v92
	s_delay_alu instid0(VALU_DEP_4) | instskip(NEXT) | instid1(VALU_DEP_3)
	v_mul_f16_e64 v201, 0x3aee, v146
	v_mul_f16_e64 v62, -0.5, v138
	s_delay_alu instid0(VALU_DEP_2) | instskip(SKIP_1) | instid1(VALU_DEP_3)
	v_fmac_f16_e64 v201, 0.5, v199
	v_mul_f16_e64 v199, 0xbaee, v199
	v_fmac_f16_e32 v62, 0x3aee, v94
	s_delay_alu instid0(VALU_DEP_3) | instskip(NEXT) | instid1(VALU_DEP_3)
	v_add_f16_e64 v214, v142, v201
	v_fmac_f16_e64 v199, 0.5, v146
	v_fma_f16 v146, 0xbaee, v64, v75
	v_fmac_f16_e32 v75, 0x3aee, v64
	v_mul_f16_e32 v64, -0.5, v94
	v_add_f16_e64 v94, v174, v168
	v_sub_f16_e64 v76, v142, v201
	v_add_f16_e64 v213, v146, v66
	v_sub_f16_e64 v66, v146, v66
	v_fmac_f16_e64 v64, 0xbaee, v138
	s_delay_alu instid0(VALU_DEP_3) | instskip(SKIP_3) | instid1(VALU_DEP_3)
	v_pack_b32_f16 v211, v211, v213
	v_fma_f16 v213, 0xbaee, v96, v80
	v_fmac_f16_e32 v80, 0x3aee, v96
	v_pack_b32_f16 v65, v65, v66
	v_add_f16_e64 v215, v213, v199
	s_delay_alu instid0(VALU_DEP_3) | instskip(SKIP_1) | instid1(VALU_DEP_3)
	v_add_f16_e32 v92, v80, v64
	v_sub_f16_e32 v64, v80, v64
	v_pack_b32_f16 v214, v214, v215
	ds_store_b32 v111, v67 offset:4560
	ds_store_2addr_b32 v81, v211, v214 offset0:164 offset1:224
	v_add_f16_e32 v67, v75, v63
	v_sub_f16_e32 v63, v75, v63
	s_wait_dscnt 0xb
	v_lshrrev_b32_e32 v75, 16, v104
	s_delay_alu instid0(VALU_DEP_3) | instskip(SKIP_3) | instid1(VALU_DEP_3)
	v_pack_b32_f16 v67, v78, v67
	v_add_f16_e64 v78, v149, v62
	v_sub_f16_e64 v62, v149, v62
	v_pack_b32_f16 v63, v77, v63
	v_pack_b32_f16 v78, v78, v92
	s_delay_alu instid0(VALU_DEP_3) | instskip(SKIP_4) | instid1(VALU_DEP_2)
	v_pack_b32_f16 v62, v62, v64
	ds_store_2addr_b32 v87, v67, v78 offset0:12 offset1:72
	v_add_f16_e32 v67, v79, v98
	v_add_f16_e64 v78, v163, v162
	v_add_f16_e64 v79, v165, v100
	v_sub_f16_e32 v96, v78, v94
	s_delay_alu instid0(VALU_DEP_2) | instskip(NEXT) | instid1(VALU_DEP_1)
	v_sub_f16_e32 v92, v67, v79
	v_pack_b32_f16 v92, v92, v96
	v_sub_f16_e64 v96, v213, v199
	ds_store_b32 v111, v92 offset:4800
	ds_store_2addr_b32 v85, v63, v62 offset0:68 offset1:128
	v_add_f16_e32 v62, v67, v79
	v_add_f16_e32 v63, v78, v94
	v_pack_b32_f16 v66, v76, v96
	v_add_f16_e64 v94, v133, v173
	v_add_f16_e64 v96, v114, v193
	v_add_nc_u32_e32 v92, 0x1600, v111
	v_pack_b32_f16 v62, v62, v63
	v_add_f16_e32 v63, v122, v97
	v_lshrrev_b32_e32 v76, 16, v105
	s_wait_dscnt 0xb
	v_lshrrev_b32_e32 v79, 16, v124
	ds_store_2addr_b32 v92, v65, v66 offset0:92 offset1:152
	v_add_f16_e32 v97, v97, v99
	v_add_f16_e32 v98, v63, v99
	;; [unrolled: 1-line block ×3, first 2 shown]
	v_mul_f16_e64 v99, 0x3aee, v147
	v_sub_f16_e32 v94, v96, v94
	v_fmac_f16_e32 v122, -0.5, v97
	v_add_f16_e32 v64, v98, v93
	v_sub_f16_e64 v97, v143, v193
	v_fmac_f16_e64 v99, 0.5, v135
	v_mul_f16_e64 v135, 0xbaee, v135
	v_lshrrev_b32_e32 v143, 16, v103
	v_pack_b32_f16 v63, v63, v64
	v_sub_f16_e32 v93, v98, v93
	v_add_f16_e64 v217, v129, v99
	v_fmac_f16_e64 v135, 0.5, v147
	ds_store_2addr_b32 v111, v62, v63 offset0:120 offset1:180
	s_clause 0x1
	global_load_b32 v228, v[60:61], off offset:5016
	global_load_b128 v[64:67], v[60:61], off offset:5000
	v_pack_b32_f16 v94, v94, v93
	s_wait_loadcnt 0x1
	v_lshrrev_b32_e32 v234, 16, v228
	s_wait_loadcnt 0x0
	v_lshrrev_b32_e32 v173, 16, v64
	v_lshrrev_b32_e32 v174, 16, v65
	;; [unrolled: 1-line block ×4, first 2 shown]
	s_delay_alu instid0(VALU_DEP_4) | instskip(NEXT) | instid1(VALU_DEP_4)
	v_mul_f16_e64 v62, v75, v173
	v_mul_f16_e64 v110, v106, v174
	s_delay_alu instid0(VALU_DEP_4) | instskip(NEXT) | instid1(VALU_DEP_3)
	v_mul_f16_e64 v138, v108, v112
	v_fma_f16 v100, v104, v64, -v62
	s_clause 0x1
	global_load_b32 v224, v[60:61], off offset:6216
	global_load_b128 v[60:63], v[60:61], off offset:6200
	v_mul_f16_e64 v104, v104, v173
	s_delay_alu instid0(VALU_DEP_1) | instskip(SKIP_1) | instid1(VALU_DEP_1)
	v_fmac_f16_e32 v104, v75, v64
	v_lshrrev_b32_e32 v75, 16, v106
	v_fmac_f16_e32 v110, v75, v65
	v_mul_f16_e64 v75, v75, v174
	s_delay_alu instid0(VALU_DEP_1)
	v_fma_f16 v106, v106, v65, -v75
	v_lshrrev_b32_e32 v75, 16, v107
	s_wait_loadcnt 0x1
	v_lshrrev_b32_e32 v199, 16, v224
	s_wait_loadcnt 0x0
	v_lshrrev_b32_e32 v162, 16, v60
	v_lshrrev_b32_e32 v163, 16, v61
	;; [unrolled: 1-line block ×4, first 2 shown]
	s_delay_alu instid0(VALU_DEP_4) | instskip(NEXT) | instid1(VALU_DEP_3)
	v_mul_f16_e64 v77, v76, v162
	v_mul_f16_e64 v78, v109, v165
	s_delay_alu instid0(VALU_DEP_3) | instskip(NEXT) | instid1(VALU_DEP_3)
	v_mul_f16_e64 v146, v125, v168
	v_fma_f16 v101, v105, v60, -v77
	v_mul_f16_e64 v105, v105, v162
	s_delay_alu instid0(VALU_DEP_1) | instskip(SKIP_1) | instid1(VALU_DEP_1)
	v_fmac_f16_e32 v105, v76, v60
	v_mul_f16_e64 v76, v75, v163
	v_fma_f16 v133, v107, v61, -v76
	v_lshrrev_b32_e32 v76, 16, v108
	v_mul_f16_e64 v107, v107, v163
	s_delay_alu instid0(VALU_DEP_2) | instskip(SKIP_1) | instid1(VALU_DEP_3)
	v_fmac_f16_e64 v138, v76, v66
	v_mul_f16_e32 v76, v76, v112
	v_fmac_f16_e32 v107, v75, v61
	s_delay_alu instid0(VALU_DEP_3) | instskip(NEXT) | instid1(VALU_DEP_3)
	v_add_f16_e64 v214, v104, v138
	v_fma_f16 v108, v108, v66, -v76
	v_lshrrev_b32_e32 v76, 16, v109
	s_delay_alu instid0(VALU_DEP_2) | instskip(NEXT) | instid1(VALU_DEP_2)
	v_add_f16_e64 v213, v100, v108
	v_mul_f16_e64 v77, v76, v165
	v_fmac_f16_e32 v78, v76, v62
	v_add_f16_e64 v76, v103, v133
	s_delay_alu instid0(VALU_DEP_3) | instskip(SKIP_1) | instid1(VALU_DEP_4)
	v_fma_f16 v77, v109, v62, -v77
	v_mul_f16_e32 v109, v124, v114
	v_add_f16_e64 v193, v105, v78
	s_delay_alu instid0(VALU_DEP_2) | instskip(SKIP_1) | instid1(VALU_DEP_1)
	v_fmac_f16_e32 v109, v79, v67
	v_mul_f16_e32 v79, v79, v114
	v_fma_f16 v124, v124, v67, -v79
	v_lshrrev_b32_e32 v79, 16, v125
	s_delay_alu instid0(VALU_DEP_1) | instskip(SKIP_2) | instid1(VALU_DEP_3)
	v_mul_f16_e64 v80, v79, v168
	v_fmac_f16_e64 v146, v79, v63
	v_add_f16_e32 v79, v101, v77
	v_fma_f16 v142, v125, v63, -v80
	s_wait_dscnt 0xc
	v_lshrrev_b32_e32 v80, 16, v127
	v_mul_f16_e64 v125, v127, v234
	s_delay_alu instid0(VALU_DEP_3) | instskip(SKIP_1) | instid1(VALU_DEP_3)
	v_add_f16_e64 v75, v133, v142
	v_add_f16_e64 v76, v76, v142
	v_fmac_f16_e64 v125, v80, v228
	v_mul_f16_e64 v80, v80, v234
	s_delay_alu instid0(VALU_DEP_4) | instskip(SKIP_1) | instid1(VALU_DEP_3)
	v_fmac_f16_e32 v103, -0.5, v75
	v_sub_f16_e64 v75, v107, v146
	v_fma_f16 v127, v127, v228, -v80
	v_lshrrev_b32_e32 v80, 16, v128
	s_delay_alu instid0(VALU_DEP_3) | instskip(SKIP_1) | instid1(VALU_DEP_3)
	v_fma_f16 v147, 0x3aee, v75, v103
	v_fmac_f16_e32 v103, 0xbaee, v75
	v_mul_f16_e64 v149, v80, v199
	s_delay_alu instid0(VALU_DEP_1) | instskip(SKIP_1) | instid1(VALU_DEP_2)
	v_fma_f16 v149, v128, v224, -v149
	v_mul_f16_e64 v128, v128, v199
	v_add_f16_e64 v75, v77, v149
	s_delay_alu instid0(VALU_DEP_2) | instskip(SKIP_1) | instid1(VALU_DEP_3)
	v_fmac_f16_e64 v128, v80, v224
	v_sub_f16_e64 v77, v77, v149
	v_fmac_f16_e32 v101, -0.5, v75
	s_delay_alu instid0(VALU_DEP_3) | instskip(SKIP_1) | instid1(VALU_DEP_2)
	v_add_f16_e64 v75, v78, v128
	v_sub_f16_e64 v78, v78, v128
	v_fmac_f16_e32 v105, -0.5, v75
	v_add_f16_e64 v75, v79, v149
	s_delay_alu instid0(VALU_DEP_3) | instskip(SKIP_1) | instid1(VALU_DEP_4)
	v_fma_f16 v149, 0x3aee, v78, v101
	v_fmac_f16_e32 v101, 0xbaee, v78
	v_fma_f16 v199, 0xbaee, v77, v105
	v_fmac_f16_e32 v105, 0x3aee, v77
	v_add_f16_e32 v77, v76, v75
	s_delay_alu instid0(VALU_DEP_4) | instskip(SKIP_2) | instid1(VALU_DEP_3)
	v_mul_f16_e64 v211, -0.5, v101
	v_sub_f16_e32 v80, v76, v75
	v_mul_f16_e64 v201, 0x3aee, v199
	v_fmac_f16_e64 v211, 0x3aee, v105
	s_delay_alu instid0(VALU_DEP_2) | instskip(NEXT) | instid1(VALU_DEP_2)
	v_fmac_f16_e64 v201, 0.5, v149
	v_add_f16_e64 v79, v103, v211
	v_sub_f16_e64 v76, v103, v211
	s_delay_alu instid0(VALU_DEP_3) | instskip(SKIP_4) | instid1(VALU_DEP_3)
	v_add_f16_e64 v78, v147, v201
	v_sub_f16_e64 v75, v147, v201
	v_lshrrev_b32_e32 v147, 16, v102
	v_add_f16_e64 v201, v110, v109
	v_add_f16_e32 v103, v106, v124
	v_add_f16_e64 v211, v147, v110
	s_delay_alu instid0(VALU_DEP_3)
	v_fmac_f16_e64 v147, -0.5, v201
	v_add_f16_e64 v201, v108, v127
	v_sub_f16_e32 v108, v108, v127
	v_fma_f16 v103, -0.5, v103, v102
	v_add_f16_e32 v102, v102, v106
	v_sub_f16_e32 v110, v110, v109
	v_fmac_f16_e64 v100, -0.5, v201
	v_add_f16_e64 v201, v138, v125
	v_sub_f16_e64 v138, v138, v125
	v_sub_f16_e32 v106, v106, v124
	v_add_f16_e32 v96, v102, v124
	v_add_f16_e64 v98, v211, v109
	v_fmac_f16_e64 v104, -0.5, v201
	v_fma_f16 v215, 0x3aee, v138, v100
	v_fmac_f16_e64 v100, 0xbaee, v138
	v_fma_f16 v219, 0xbaee, v106, v147
	v_fmac_f16_e64 v147, 0x3aee, v106
	v_fma_f16 v201, 0xbaee, v108, v104
	v_fmac_f16_e32 v104, 0x3aee, v108
	v_add_f16_e64 v102, v214, v125
	s_delay_alu instid0(VALU_DEP_3) | instskip(NEXT) | instid1(VALU_DEP_1)
	v_mul_f16_e64 v216, 0x3aee, v201
	v_fmac_f16_e64 v216, 0.5, v215
	v_mul_f16_e64 v215, 0xbaee, v215
	s_delay_alu instid0(VALU_DEP_1) | instskip(SKIP_3) | instid1(VALU_DEP_4)
	v_fmac_f16_e64 v215, 0.5, v201
	v_fma_f16 v201, 0xbaee, v97, v122
	v_fmac_f16_e32 v122, 0x3aee, v97
	v_mul_f16_e32 v97, -0.5, v100
	v_add_f16_e64 v222, v219, v215
	s_delay_alu instid0(VALU_DEP_4) | instskip(NEXT) | instid1(VALU_DEP_3)
	v_add_f16_e64 v218, v201, v135
	v_fmac_f16_e32 v97, 0x3aee, v104
	v_mul_f16_e32 v104, -0.5, v104
	s_delay_alu instid0(VALU_DEP_3) | instskip(SKIP_2) | instid1(VALU_DEP_4)
	v_pack_b32_f16 v217, v217, v218
	v_fma_f16 v218, 0x3aee, v110, v103
	v_fmac_f16_e32 v103, 0xbaee, v110
	v_fmac_f16_e32 v104, 0xbaee, v100
	v_add_f16_e32 v100, v122, v95
	s_delay_alu instid0(VALU_DEP_4) | instskip(NEXT) | instid1(VALU_DEP_4)
	v_add_f16_e64 v221, v218, v216
	v_add_f16_e32 v106, v103, v97
	s_delay_alu instid0(VALU_DEP_4) | instskip(NEXT) | instid1(VALU_DEP_4)
	v_add_f16_e64 v108, v147, v104
	v_pack_b32_f16 v100, v197, v100
	s_delay_alu instid0(VALU_DEP_4) | instskip(NEXT) | instid1(VALU_DEP_3)
	v_pack_b32_f16 v221, v221, v222
	v_pack_b32_f16 v106, v106, v108
	v_sub_f16_e64 v108, v219, v215
	ds_store_2addr_b32 v88, v217, v221 offset0:28 offset1:88
	ds_store_2addr_b32 v87, v100, v106 offset0:132 offset1:192
	v_add_f16_e64 v100, v213, v127
	v_sub_f16_e32 v106, v98, v102
	s_delay_alu instid0(VALU_DEP_2) | instskip(NEXT) | instid1(VALU_DEP_1)
	v_sub_f16_e32 v93, v96, v100
	v_pack_b32_f16 v106, v93, v106
	v_add_nc_u32_e32 v93, 0x1200, v111
	ds_store_2addr_b32 v93, v94, v106 offset0:108 offset1:168
	v_sub_f16_e64 v94, v129, v99
	v_sub_f16_e64 v99, v201, v135
	v_sub_f16_e64 v106, v218, v216
	s_delay_alu instid0(VALU_DEP_2) | instskip(NEXT) | instid1(VALU_DEP_2)
	v_pack_b32_f16 v94, v94, v99
	v_pack_b32_f16 v99, v106, v108
	ds_store_2addr_b32 v86, v94, v99 offset0:84 offset1:144
	v_sub_f16_e32 v94, v122, v95
	v_sub_f16_e32 v95, v103, v97
	v_sub_f16_e64 v97, v147, v104
	s_delay_alu instid0(VALU_DEP_3) | instskip(NEXT) | instid1(VALU_DEP_2)
	v_pack_b32_f16 v94, v198, v94
	v_pack_b32_f16 v95, v95, v97
	ds_store_2addr_b32 v85, v94, v95 offset0:188 offset1:248
	v_add_f16_e32 v94, v96, v100
	v_add_f16_e32 v95, v98, v102
	v_add_f16_e64 v96, v193, v128
	v_mul_f16_e32 v98, -0.5, v105
	s_delay_alu instid0(VALU_DEP_3) | instskip(SKIP_1) | instid1(VALU_DEP_3)
	v_pack_b32_f16 v94, v94, v95
	v_add_f16_e64 v95, v143, v107
	v_fmac_f16_e32 v98, 0xbaee, v101
	s_delay_alu instid0(VALU_DEP_2) | instskip(NEXT) | instid1(VALU_DEP_1)
	v_add_f16_e64 v95, v95, v146
	v_add_f16_e32 v125, v95, v96
	v_sub_f16_e64 v129, v95, v96
	s_delay_alu instid0(VALU_DEP_2) | instskip(SKIP_2) | instid1(VALU_DEP_1)
	v_pack_b32_f16 v97, v77, v125
	ds_store_2addr_b32 v91, v94, v97 offset0:112 offset1:172
	v_add_f16_e64 v94, v107, v146
	v_fmac_f16_e64 v143, -0.5, v94
	v_sub_f16_e64 v94, v133, v142
	s_delay_alu instid0(VALU_DEP_1) | instskip(SKIP_2) | instid1(VALU_DEP_2)
	v_fma_f16 v97, 0xbaee, v94, v143
	v_fmac_f16_e64 v143, 0x3aee, v94
	v_mul_f16_e64 v94, 0xbaee, v149
	v_add_f16_e64 v124, v143, v98
	s_delay_alu instid0(VALU_DEP_2) | instskip(SKIP_1) | instid1(VALU_DEP_3)
	v_fmac_f16_e64 v94, 0.5, v199
	v_sub_f16_e64 v127, v143, v98
	v_pack_b32_f16 v95, v79, v124
	s_delay_alu instid0(VALU_DEP_3) | instskip(SKIP_1) | instid1(VALU_DEP_2)
	v_add_f16_e64 v128, v97, v94
	v_sub_f16_e32 v122, v97, v94
	v_pack_b32_f16 v94, v78, v128
	ds_store_b32 v111, v94 offset:2640
	v_pack_b32_f16 v94, v80, v129
	ds_store_b32 v111, v95 offset:4080
	;; [unrolled: 2-line block ×4, first 2 shown]
	ds_store_b32 v111, v94 offset:8400
	global_wb scope:SCOPE_SE
	s_wait_dscnt 0x0
	s_barrier_signal -1
	s_barrier_wait -1
	global_inv scope:SCOPE_SE
	global_load_b32 v97, v[68:69], off offset:8640
	v_lshlrev_b32_e32 v94, 2, v171
	s_clause 0x3
	global_load_b32 v100, v94, s[0:1] offset:1104
	global_load_b32 v110, v94, s[0:1] offset:240
	;; [unrolled: 1-line block ×4, first 2 shown]
	ds_load_2addr_b32 v[95:96], v111 offset1:60
	s_wait_dscnt 0x0
	v_lshrrev_b32_e32 v99, 16, v95
	s_wait_loadcnt 0x4
	v_lshrrev_b32_e32 v98, 16, v97
	s_delay_alu instid0(VALU_DEP_1) | instskip(NEXT) | instid1(VALU_DEP_3)
	v_mul_f16_e32 v101, v95, v98
	v_mul_f16_e32 v98, v99, v98
	s_delay_alu instid0(VALU_DEP_2) | instskip(NEXT) | instid1(VALU_DEP_2)
	v_fmac_f16_e32 v101, v99, v97
	v_fma_f16 v95, v95, v97, -v98
	s_delay_alu instid0(VALU_DEP_1)
	v_pack_b32_f16 v95, v95, v101
	ds_store_b32 v111, v95
	global_load_b32 v95, v94, s[0:1] offset:864
	ds_load_2addr_b32 v[97:98], v111 offset0:120 offset1:216
	s_wait_dscnt 0x0
	v_lshrrev_b32_e32 v101, 16, v98
	s_wait_loadcnt 0x0
	v_lshrrev_b32_e32 v99, 16, v95
	s_delay_alu instid0(VALU_DEP_1) | instskip(NEXT) | instid1(VALU_DEP_3)
	v_mul_f16_e32 v102, v98, v99
	v_mul_f16_e32 v99, v101, v99
	s_delay_alu instid0(VALU_DEP_2) | instskip(NEXT) | instid1(VALU_DEP_2)
	v_fmac_f16_e32 v102, v101, v95
	v_fma_f16 v95, v98, v95, -v99
	ds_load_2addr_b32 v[98:99], v81 offset0:20 offset1:80
	v_lshrrev_b32_e32 v101, 16, v100
	v_pack_b32_f16 v95, v95, v102
	s_wait_dscnt 0x0
	v_lshrrev_b32_e32 v103, 16, v98
	s_delay_alu instid0(VALU_DEP_3) | instskip(NEXT) | instid1(VALU_DEP_2)
	v_mul_f16_e32 v104, v98, v101
	v_mul_f16_e32 v101, v103, v101
	s_delay_alu instid0(VALU_DEP_2) | instskip(NEXT) | instid1(VALU_DEP_2)
	v_fmac_f16_e32 v104, v103, v100
	v_fma_f16 v98, v98, v100, -v101
	s_delay_alu instid0(VALU_DEP_1)
	v_pack_b32_f16 v98, v98, v104
	ds_store_2addr_b32 v91, v95, v98 offset0:88 offset1:148
	s_clause 0x3
	global_load_b32 v91, v94, s[0:1] offset:6048
	global_load_b32 v95, v94, s[0:1] offset:6288
	;; [unrolled: 1-line block ×4, first 2 shown]
	ds_load_2addr_b32 v[100:101], v82 offset0:136 offset1:232
	s_wait_dscnt 0x0
	v_lshrrev_b32_e32 v103, 16, v101
	s_wait_loadcnt 0x3
	v_lshrrev_b32_e32 v102, 16, v91
	s_delay_alu instid0(VALU_DEP_1) | instskip(NEXT) | instid1(VALU_DEP_3)
	v_mul_f16_e32 v104, v101, v102
	v_mul_f16_e32 v102, v103, v102
	s_delay_alu instid0(VALU_DEP_2) | instskip(NEXT) | instid1(VALU_DEP_2)
	v_fmac_f16_e32 v104, v103, v91
	v_fma_f16 v91, v101, v91, -v102
	ds_load_2addr_b32 v[101:102], v86 offset0:36 offset1:96
	s_wait_loadcnt 0x2
	v_lshrrev_b32_e32 v103, 16, v95
	v_pack_b32_f16 v91, v91, v104
	s_wait_dscnt 0x0
	v_lshrrev_b32_e32 v105, 16, v101
	s_delay_alu instid0(VALU_DEP_3) | instskip(NEXT) | instid1(VALU_DEP_2)
	v_mul_f16_e32 v106, v101, v103
	v_mul_f16_e32 v103, v105, v103
	s_delay_alu instid0(VALU_DEP_2) | instskip(NEXT) | instid1(VALU_DEP_2)
	v_fmac_f16_e32 v106, v105, v95
	v_fma_f16 v95, v101, v95, -v103
	s_delay_alu instid0(VALU_DEP_1)
	v_pack_b32_f16 v95, v95, v106
	ds_store_2addr_b32 v92, v91, v95 offset0:104 offset1:164
	s_clause 0x1
	global_load_b32 v95, v94, s[0:1] offset:1968
	global_load_b32 v101, v94, s[0:1] offset:1728
	ds_load_2addr_b32 v[91:92], v81 offset0:176 offset1:236
	s_wait_dscnt 0x0
	v_lshrrev_b32_e32 v104, 16, v92
	s_wait_loadcnt 0x1
	v_lshrrev_b32_e32 v103, 16, v95
	s_delay_alu instid0(VALU_DEP_1) | instskip(NEXT) | instid1(VALU_DEP_3)
	v_mul_f16_e32 v105, v92, v103
	v_mul_f16_e32 v103, v104, v103
	s_delay_alu instid0(VALU_DEP_2) | instskip(NEXT) | instid1(VALU_DEP_2)
	v_fmac_f16_e32 v105, v104, v95
	v_fma_f16 v92, v92, v95, -v103
	s_clause 0x5
	global_load_b32 v95, v94, s[0:1] offset:2208
	global_load_b32 v140, v94, s[0:1] offset:2592
	;; [unrolled: 1-line block ×6, first 2 shown]
	ds_load_2addr_b32 v[103:104], v88 offset0:40 offset1:136
	v_pack_b32_f16 v92, v92, v105
	s_wait_dscnt 0x0
	v_lshrrev_b32_e32 v107, 16, v103
	s_wait_loadcnt 0x5
	v_lshrrev_b32_e32 v106, 16, v95
	s_delay_alu instid0(VALU_DEP_1) | instskip(NEXT) | instid1(VALU_DEP_3)
	v_mul_f16_e32 v108, v103, v106
	v_mul_f16_e32 v106, v107, v106
	s_delay_alu instid0(VALU_DEP_2) | instskip(NEXT) | instid1(VALU_DEP_2)
	v_fmac_f16_e32 v108, v107, v95
	v_fma_f16 v95, v103, v95, -v106
	s_delay_alu instid0(VALU_DEP_1)
	v_pack_b32_f16 v95, v95, v108
	ds_store_2addr_b32 v90, v92, v95 offset0:108 offset1:168
	s_clause 0x2
	global_load_b32 v90, v94, s[0:1] offset:5184
	global_load_b32 v95, v94, s[0:1] offset:5424
	;; [unrolled: 1-line block ×3, first 2 shown]
	ds_load_2addr_b32 v[105:106], v82 offset0:16 offset1:76
	s_wait_dscnt 0x0
	v_lshrrev_b32_e32 v107, 16, v105
	s_wait_loadcnt 0x2
	v_lshrrev_b32_e32 v103, 16, v90
	s_delay_alu instid0(VALU_DEP_1) | instskip(NEXT) | instid1(VALU_DEP_3)
	v_mul_f16_e32 v109, v105, v103
	v_mul_f16_e32 v103, v107, v103
	s_delay_alu instid0(VALU_DEP_2)
	v_fmac_f16_e32 v109, v107, v90
	ds_load_2addr_b32 v[107:108], v84 offset0:116 offset1:176
	v_fma_f16 v90, v105, v90, -v103
	s_wait_loadcnt 0x0
	v_lshrrev_b32_e32 v105, 16, v92
	global_load_b32 v103, v94, s[0:1] offset:4560
	v_pack_b32_f16 v90, v90, v109
	s_wait_dscnt 0x0
	v_lshrrev_b32_e32 v149, 16, v108
	v_mul_f16_e64 v193, v108, v105
	s_delay_alu instid0(VALU_DEP_2) | instskip(NEXT) | instid1(VALU_DEP_2)
	v_mul_f16_e64 v105, v149, v105
	v_fmac_f16_e64 v193, v149, v92
	s_delay_alu instid0(VALU_DEP_2) | instskip(NEXT) | instid1(VALU_DEP_1)
	v_fma_f16 v92, v108, v92, -v105
	v_pack_b32_f16 v92, v92, v193
	ds_store_2addr_b32 v93, v92, v90 offset0:48 offset1:144
	s_clause 0x5
	global_load_b32 v90, v94, s[0:1] offset:7152
	global_load_b32 v105, v94, s[0:1] offset:7392
	;; [unrolled: 1-line block ×6, first 2 shown]
	ds_load_2addr_b32 v[92:93], v86 offset0:192 offset1:252
	s_wait_dscnt 0x0
	v_lshrrev_b32_e32 v109, 16, v93
	s_wait_loadcnt 0x5
	v_lshrrev_b32_e32 v108, 16, v90
	s_delay_alu instid0(VALU_DEP_1) | instskip(NEXT) | instid1(VALU_DEP_3)
	v_mul_f16_e64 v199, v93, v108
	v_mul_f16_e32 v108, v109, v108
	s_delay_alu instid0(VALU_DEP_2) | instskip(NEXT) | instid1(VALU_DEP_2)
	v_fmac_f16_e64 v199, v109, v90
	v_fma_f16 v90, v93, v90, -v108
	ds_load_2addr_b32 v[108:109], v85 offset0:56 offset1:152
	s_wait_loadcnt 0x4
	v_lshrrev_b32_e32 v93, 16, v105
	v_pack_b32_f16 v90, v90, v199
	s_wait_dscnt 0x0
	v_lshrrev_b32_e32 v201, 16, v108
	s_delay_alu instid0(VALU_DEP_3) | instskip(NEXT) | instid1(VALU_DEP_2)
	v_mul_f16_e64 v211, v108, v93
	v_mul_f16_e64 v93, v201, v93
	s_delay_alu instid0(VALU_DEP_2) | instskip(NEXT) | instid1(VALU_DEP_2)
	v_fmac_f16_e64 v211, v201, v105
	v_fma_f16 v93, v108, v105, -v93
	v_add_nc_u32_e32 v105, 0x1a00, v111
	s_delay_alu instid0(VALU_DEP_2) | instskip(SKIP_3) | instid1(VALU_DEP_1)
	v_pack_b32_f16 v93, v93, v211
	ds_store_2addr_b32 v105, v90, v93 offset0:124 offset1:184
	v_lshrrev_b32_e32 v90, 16, v91
	v_lshrrev_b32_e32 v93, 16, v101
	v_mul_f16_e32 v105, v90, v93
	v_mul_f16_e32 v108, v91, v93
	s_delay_alu instid0(VALU_DEP_2) | instskip(NEXT) | instid1(VALU_DEP_2)
	v_fma_f16 v105, v91, v101, -v105
	v_fmac_f16_e32 v108, v90, v101
	v_lshrrev_b32_e32 v90, 16, v104
	v_lshrrev_b32_e32 v91, 16, v140
	s_delay_alu instid0(VALU_DEP_1) | instskip(SKIP_3) | instid1(VALU_DEP_3)
	v_mul_f16_e32 v93, v90, v91
	v_mul_f16_e32 v101, v104, v91
	s_wait_loadcnt 0x0
	v_lshrrev_b32_e32 v91, 16, v198
	v_fma_f16 v93, v104, v140, -v93
	s_delay_alu instid0(VALU_DEP_3) | instskip(SKIP_1) | instid1(VALU_DEP_4)
	v_fmac_f16_e64 v101, v90, v140
	v_lshrrev_b32_e32 v90, 16, v92
	v_mul_f16_e64 v140, v92, v91
	s_delay_alu instid0(VALU_DEP_2) | instskip(NEXT) | instid1(VALU_DEP_2)
	v_mul_f16_e32 v104, v90, v91
	v_fmac_f16_e64 v140, v90, v198
	v_lshrrev_b32_e32 v90, 16, v109
	v_lshrrev_b32_e32 v91, 16, v149
	s_delay_alu instid0(VALU_DEP_4) | instskip(NEXT) | instid1(VALU_DEP_2)
	v_fma_f16 v104, v92, v198, -v104
	v_mul_f16_e32 v92, v90, v91
	v_mul_f16_e64 v198, v109, v91
	v_lshrrev_b32_e32 v91, 16, v110
	s_delay_alu instid0(VALU_DEP_3) | instskip(NEXT) | instid1(VALU_DEP_3)
	v_fma_f16 v109, v109, v149, -v92
	v_fmac_f16_e64 v198, v90, v149
	v_lshrrev_b32_e32 v90, 16, v96
	s_delay_alu instid0(VALU_DEP_4) | instskip(NEXT) | instid1(VALU_DEP_2)
	v_mul_f16_e64 v149, v96, v91
	v_mul_f16_e32 v92, v90, v91
	s_delay_alu instid0(VALU_DEP_2)
	v_fmac_f16_e64 v149, v90, v110
	ds_load_2addr_b32 v[90:91], v83 offset0:68 offset1:128
	v_fma_f16 v199, v96, v110, -v92
	v_lshrrev_b32_e32 v92, 16, v142
	s_wait_dscnt 0x0
	v_lshrrev_b32_e32 v96, 16, v90
	s_delay_alu instid0(VALU_DEP_2) | instskip(NEXT) | instid1(VALU_DEP_2)
	v_mul_f16_e32 v110, v90, v92
	v_mul_f16_e32 v92, v96, v92
	s_delay_alu instid0(VALU_DEP_2) | instskip(NEXT) | instid1(VALU_DEP_2)
	v_fmac_f16_e64 v110, v96, v142
	v_fma_f16 v90, v90, v142, -v92
	v_pack_b32_f16 v92, v93, v101
	s_delay_alu instid0(VALU_DEP_2)
	v_pack_b32_f16 v90, v90, v110
	ds_store_2addr_b32 v88, v92, v90 offset0:136 offset1:196
	global_load_b32 v90, v94, s[0:1] offset:3456
	ds_load_2addr_b32 v[92:93], v87 offset0:96 offset1:156
	s_wait_dscnt 0x0
	v_lshrrev_b32_e32 v101, 16, v92
	s_wait_loadcnt 0x0
	v_lshrrev_b32_e32 v96, 16, v90
	s_delay_alu instid0(VALU_DEP_1) | instskip(NEXT) | instid1(VALU_DEP_3)
	v_mul_f16_e32 v110, v92, v96
	v_mul_f16_e32 v96, v101, v96
	s_delay_alu instid0(VALU_DEP_2) | instskip(NEXT) | instid1(VALU_DEP_2)
	v_fmac_f16_e32 v110, v101, v90
	v_fma_f16 v101, v92, v90, -v96
	v_lshrrev_b32_e32 v92, 16, v143
	v_lshrrev_b32_e32 v90, 16, v93
	s_delay_alu instid0(VALU_DEP_2) | instskip(NEXT) | instid1(VALU_DEP_2)
	v_mul_f16_e64 v142, v93, v92
	v_mul_f16_e32 v96, v90, v92
	v_lshrrev_b32_e32 v92, 16, v103
	s_delay_alu instid0(VALU_DEP_3) | instskip(SKIP_1) | instid1(VALU_DEP_4)
	v_fmac_f16_e64 v142, v90, v143
	v_lshrrev_b32_e32 v90, 16, v107
	v_fma_f16 v201, v93, v143, -v96
	s_delay_alu instid0(VALU_DEP_4) | instskip(NEXT) | instid1(VALU_DEP_3)
	v_mul_f16_e32 v96, v107, v92
	v_mul_f16_e32 v93, v90, v92
	s_delay_alu instid0(VALU_DEP_2) | instskip(SKIP_1) | instid1(VALU_DEP_3)
	v_fmac_f16_e32 v96, v90, v103
	v_add_nc_u32_e32 v90, 0xe00, v111
	v_fma_f16 v107, v107, v103, -v93
	global_load_b32 v103, v94, s[0:1] offset:4320
	ds_load_2addr_b32 v[92:93], v90 offset0:88 offset1:184
	v_pack_b32_f16 v96, v107, v96
	s_wait_dscnt 0x0
	v_lshrrev_b32_e32 v211, 16, v93
	s_wait_loadcnt 0x0
	v_lshrrev_b32_e32 v143, 16, v103
	s_delay_alu instid0(VALU_DEP_1) | instskip(NEXT) | instid1(VALU_DEP_3)
	v_mul_f16_e64 v213, v93, v143
	v_mul_f16_e64 v143, v211, v143
	s_delay_alu instid0(VALU_DEP_2) | instskip(NEXT) | instid1(VALU_DEP_2)
	v_fmac_f16_e64 v213, v211, v103
	v_fma_f16 v93, v93, v103, -v143
	s_delay_alu instid0(VALU_DEP_1) | instskip(SKIP_3) | instid1(VALU_DEP_1)
	v_pack_b32_f16 v93, v93, v213
	ds_store_2addr_b32 v84, v93, v96 offset0:56 offset1:116
	v_lshrrev_b32_e32 v93, 16, v106
	v_lshrrev_b32_e32 v96, 16, v95
	v_mul_f16_e32 v103, v93, v96
	v_mul_f16_e32 v107, v106, v96
	s_delay_alu instid0(VALU_DEP_2) | instskip(NEXT) | instid1(VALU_DEP_2)
	v_fma_f16 v103, v106, v95, -v103
	v_fmac_f16_e32 v107, v93, v95
	v_lshrrev_b32_e32 v93, 16, v97
	v_lshrrev_b32_e32 v95, 16, v135
	s_delay_alu instid0(VALU_DEP_1) | instskip(SKIP_1) | instid1(VALU_DEP_2)
	v_mul_f16_e32 v96, v93, v95
	v_mul_f16_e32 v106, v97, v95
	v_fma_f16 v97, v97, v135, -v96
	ds_load_2addr_b32 v[95:96], v89 offset0:84 offset1:144
	v_fmac_f16_e64 v106, v93, v135
	v_lshrrev_b32_e32 v93, 16, v193
	s_wait_dscnt 0x0
	v_lshrrev_b32_e32 v135, 16, v95
	s_delay_alu instid0(VALU_DEP_2) | instskip(NEXT) | instid1(VALU_DEP_2)
	v_mul_f16_e64 v143, v95, v93
	v_mul_f16_e64 v93, v135, v93
	s_delay_alu instid0(VALU_DEP_2) | instskip(NEXT) | instid1(VALU_DEP_2)
	v_fmac_f16_e64 v143, v135, v193
	v_fma_f16 v93, v95, v193, -v93
	v_pack_b32_f16 v95, v109, v198
	s_delay_alu instid0(VALU_DEP_2)
	v_pack_b32_f16 v93, v93, v143
	ds_store_2addr_b32 v85, v95, v93 offset0:152 offset1:212
	v_pack_b32_f16 v93, v199, v149
	v_pack_b32_f16 v95, v97, v106
	ds_store_2addr_b32 v111, v93, v95 offset0:60 offset1:120
	v_lshrrev_b32_e32 v93, 16, v99
	v_lshrrev_b32_e32 v95, 16, v133
	s_delay_alu instid0(VALU_DEP_1) | instskip(SKIP_1) | instid1(VALU_DEP_2)
	v_mul_f16_e32 v97, v93, v95
	v_mul_f16_e32 v95, v99, v95
	v_fma_f16 v97, v99, v133, -v97
	s_delay_alu instid0(VALU_DEP_2) | instskip(SKIP_2) | instid1(VALU_DEP_3)
	v_fmac_f16_e64 v95, v93, v133
	v_lshrrev_b32_e32 v93, 16, v91
	v_lshrrev_b32_e32 v99, 16, v147
	v_pack_b32_f16 v95, v97, v95
	s_delay_alu instid0(VALU_DEP_2) | instskip(SKIP_1) | instid1(VALU_DEP_2)
	v_mul_f16_e32 v106, v93, v99
	v_mul_f16_e32 v99, v91, v99
	v_fma_f16 v91, v91, v147, -v106
	s_delay_alu instid0(VALU_DEP_2) | instskip(SKIP_1) | instid1(VALU_DEP_2)
	v_fmac_f16_e64 v99, v93, v147
	v_pack_b32_f16 v93, v105, v108
	v_pack_b32_f16 v91, v91, v99
	ds_store_2addr_b32 v81, v95, v93 offset0:80 offset1:176
	v_pack_b32_f16 v93, v101, v110
	ds_store_2addr_b32 v87, v91, v93 offset1:96
	v_lshrrev_b32_e32 v91, 16, v92
	v_lshrrev_b32_e32 v93, 16, v146
	s_delay_alu instid0(VALU_DEP_1) | instskip(SKIP_1) | instid1(VALU_DEP_2)
	v_mul_f16_e32 v95, v91, v93
	v_mul_f16_e32 v93, v92, v93
	v_fma_f16 v92, v92, v146, -v95
	s_delay_alu instid0(VALU_DEP_2) | instskip(SKIP_2) | instid1(VALU_DEP_3)
	v_fmac_f16_e64 v93, v91, v146
	v_lshrrev_b32_e32 v91, 16, v100
	v_lshrrev_b32_e32 v95, 16, v138
	v_pack_b32_f16 v92, v92, v93
	s_delay_alu instid0(VALU_DEP_2) | instskip(SKIP_1) | instid1(VALU_DEP_2)
	v_mul_f16_e32 v97, v91, v95
	v_mul_f16_e32 v95, v100, v95
	v_fma_f16 v97, v100, v138, -v97
	s_delay_alu instid0(VALU_DEP_2)
	v_fmac_f16_e64 v95, v91, v138
	v_pack_b32_f16 v91, v201, v142
	ds_store_2addr_b32 v87, v91, v92 offset0:156 offset1:216
	v_pack_b32_f16 v91, v103, v107
	v_pack_b32_f16 v92, v97, v95
	v_lshrrev_b32_e32 v95, 16, v197
	ds_store_2addr_b32 v82, v91, v92 offset0:76 offset1:136
	v_lshrrev_b32_e32 v91, 16, v102
	v_lshrrev_b32_e32 v92, 16, v98
	s_delay_alu instid0(VALU_DEP_1) | instskip(SKIP_1) | instid1(VALU_DEP_2)
	v_mul_f16_e32 v93, v91, v92
	v_mul_f16_e32 v92, v102, v92
	v_fma_f16 v93, v102, v98, -v93
	s_delay_alu instid0(VALU_DEP_2) | instskip(SKIP_1) | instid1(VALU_DEP_2)
	v_fmac_f16_e32 v92, v91, v98
	v_lshrrev_b32_e32 v91, 16, v96
	v_pack_b32_f16 v92, v93, v92
	s_delay_alu instid0(VALU_DEP_2) | instskip(SKIP_1) | instid1(VALU_DEP_2)
	v_mul_f16_e32 v97, v91, v95
	v_mul_f16_e32 v95, v96, v95
	v_fma_f16 v96, v96, v197, -v97
	s_delay_alu instid0(VALU_DEP_2)
	v_fmac_f16_e64 v95, v91, v197
	v_pack_b32_f16 v91, v104, v140
	ds_store_2addr_b32 v86, v92, v91 offset0:96 offset1:192
	v_pack_b32_f16 v91, v96, v95
	ds_store_b32 v111, v91 offset:8256
	s_and_saveexec_b32 s2, vcc_lo
	s_cbranch_execz .LBB0_9
; %bb.8:
	s_wait_alu 0xfffe
	v_add_co_u32 v91, s0, s0, v94
	s_wait_alu 0xf1ff
	v_add_co_ci_u32_e64 v92, null, s1, 0, s0
	v_add_nc_u32_e32 v103, 0x280, v111
	s_clause 0x9
	global_load_b32 v93, v[91:92], off offset:720
	global_load_b32 v94, v[91:92], off offset:1584
	;; [unrolled: 1-line block ×10, first 2 shown]
	ds_load_2addr_b32 v[91:92], v103 offset0:20 offset1:236
	s_wait_dscnt 0x0
	v_lshrrev_b32_e32 v104, 16, v91
	v_lshrrev_b32_e32 v106, 16, v92
	s_wait_loadcnt 0x9
	v_lshrrev_b32_e32 v105, 16, v93
	s_wait_loadcnt 0x8
	v_lshrrev_b32_e32 v107, 16, v94
	s_delay_alu instid0(VALU_DEP_2) | instskip(SKIP_1) | instid1(VALU_DEP_3)
	v_mul_f16_e32 v108, v104, v105
	v_mul_f16_e32 v105, v91, v105
	;; [unrolled: 1-line block ×4, first 2 shown]
	s_delay_alu instid0(VALU_DEP_4) | instskip(NEXT) | instid1(VALU_DEP_4)
	v_fma_f16 v91, v91, v93, -v108
	v_fmac_f16_e32 v105, v104, v93
	s_delay_alu instid0(VALU_DEP_4) | instskip(NEXT) | instid1(VALU_DEP_4)
	v_fma_f16 v92, v92, v94, -v109
	v_fmac_f16_e32 v107, v106, v94
	v_add_nc_u32_e32 v93, 0x900, v111
	s_wait_loadcnt 0x7
	v_lshrrev_b32_e32 v94, 16, v95
	v_pack_b32_f16 v91, v91, v105
	v_pack_b32_f16 v92, v92, v107
	ds_store_2addr_b32 v103, v91, v92 offset0:20 offset1:236
	ds_load_2addr_b32 v[91:92], v93 offset0:36 offset1:252
	s_wait_loadcnt 0x6
	v_lshrrev_b32_e32 v103, 16, v96
	s_wait_dscnt 0x0
	v_lshrrev_b32_e32 v104, 16, v91
	v_lshrrev_b32_e32 v105, 16, v92
	v_mul_f16_e32 v106, v91, v94
	v_mul_f16_e32 v107, v92, v103
	s_delay_alu instid0(VALU_DEP_4) | instskip(NEXT) | instid1(VALU_DEP_4)
	v_mul_f16_e32 v94, v104, v94
	v_mul_f16_e32 v103, v105, v103
	s_delay_alu instid0(VALU_DEP_4) | instskip(NEXT) | instid1(VALU_DEP_4)
	v_fmac_f16_e32 v106, v104, v95
	v_fmac_f16_e32 v107, v105, v96
	s_delay_alu instid0(VALU_DEP_4) | instskip(NEXT) | instid1(VALU_DEP_4)
	v_fma_f16 v91, v91, v95, -v94
	v_fma_f16 v92, v92, v96, -v103
	s_wait_loadcnt 0x4
	v_lshrrev_b32_e32 v94, 16, v98
	s_delay_alu instid0(VALU_DEP_3) | instskip(NEXT) | instid1(VALU_DEP_3)
	v_pack_b32_f16 v91, v91, v106
	v_pack_b32_f16 v92, v92, v107
	ds_store_2addr_b32 v93, v91, v92 offset0:36 offset1:252
	ds_load_2addr_b32 v[91:92], v84 offset0:20 offset1:236
	v_lshrrev_b32_e32 v93, 16, v97
	s_wait_dscnt 0x0
	v_lshrrev_b32_e32 v95, 16, v91
	v_lshrrev_b32_e32 v96, 16, v92
	s_delay_alu instid0(VALU_DEP_3) | instskip(SKIP_1) | instid1(VALU_DEP_4)
	v_mul_f16_e32 v103, v91, v93
	v_mul_f16_e32 v104, v92, v94
	;; [unrolled: 1-line block ×3, first 2 shown]
	s_delay_alu instid0(VALU_DEP_4) | instskip(NEXT) | instid1(VALU_DEP_4)
	v_mul_f16_e32 v94, v96, v94
	v_fmac_f16_e32 v103, v95, v97
	s_delay_alu instid0(VALU_DEP_4)
	v_fmac_f16_e32 v104, v96, v98
	v_add_nc_u32_e32 v95, 0x1700, v111
	v_fma_f16 v91, v91, v97, -v93
	v_fma_f16 v92, v92, v98, -v94
	v_add_nc_u32_e32 v96, 0x1d80, v111
	s_wait_loadcnt 0x3
	v_lshrrev_b32_e32 v97, 16, v99
	s_wait_loadcnt 0x2
	v_lshrrev_b32_e32 v98, 16, v100
	v_pack_b32_f16 v91, v91, v103
	v_pack_b32_f16 v92, v92, v104
	s_wait_loadcnt 0x1
	v_lshrrev_b32_e32 v103, 16, v101
	s_wait_loadcnt 0x0
	v_lshrrev_b32_e32 v104, 16, v102
	ds_store_2addr_b32 v84, v91, v92 offset0:20 offset1:236
	ds_load_2addr_b32 v[91:92], v95 offset0:4 offset1:220
	ds_load_2addr_b32 v[93:94], v96 offset0:20 offset1:236
	s_wait_dscnt 0x1
	v_lshrrev_b32_e32 v105, 16, v91
	v_lshrrev_b32_e32 v107, 16, v92
	s_wait_dscnt 0x0
	v_lshrrev_b32_e32 v109, 16, v93
	v_lshrrev_b32_e32 v133, 16, v94
	v_mul_f16_e32 v106, v91, v97
	v_mul_f16_e32 v108, v92, v98
	;; [unrolled: 1-line block ×5, first 2 shown]
	v_mul_f16_e64 v135, v94, v104
	v_mul_f16_e32 v103, v109, v103
	v_mul_f16_e64 v104, v133, v104
	v_fmac_f16_e32 v106, v105, v99
	v_fmac_f16_e32 v108, v107, v100
	v_fma_f16 v91, v91, v99, -v97
	v_fma_f16 v92, v92, v100, -v98
	v_fmac_f16_e32 v110, v109, v101
	v_fmac_f16_e64 v135, v133, v102
	v_fma_f16 v93, v93, v101, -v103
	v_fma_f16 v94, v94, v102, -v104
	v_pack_b32_f16 v91, v91, v106
	v_pack_b32_f16 v92, v92, v108
	s_delay_alu instid0(VALU_DEP_4) | instskip(NEXT) | instid1(VALU_DEP_4)
	v_pack_b32_f16 v93, v93, v110
	v_pack_b32_f16 v94, v94, v135
	ds_store_2addr_b32 v95, v91, v92 offset0:4 offset1:220
	ds_store_2addr_b32 v96, v93, v94 offset0:20 offset1:236
.LBB0_9:
	s_wait_alu 0xfffe
	s_or_b32 exec_lo, exec_lo, s2
	global_wb scope:SCOPE_SE
	s_wait_dscnt 0x0
	s_barrier_signal -1
	s_barrier_wait -1
	global_inv scope:SCOPE_SE
	ds_load_2addr_b32 v[101:102], v111 offset1:60
	ds_load_2addr_b32 v[91:92], v111 offset0:120 offset1:216
	ds_load_2addr_b32 v[103:104], v81 offset0:176 offset1:236
	ds_load_2addr_b32 v[95:96], v88 offset0:40 offset1:136
	ds_load_2addr_b32 v[107:108], v87 offset0:96 offset1:156
	ds_load_2addr_b32 v[93:94], v90 offset0:88 offset1:184
	ds_load_2addr_b32 v[109:110], v82 offset0:16 offset1:76
	ds_load_2addr_b32 v[97:98], v82 offset0:136 offset1:232
	ds_load_2addr_b32 v[105:106], v86 offset0:192 offset1:252
	ds_load_2addr_b32 v[99:100], v85 offset0:56 offset1:152
	ds_load_2addr_b32 v[81:82], v81 offset0:20 offset1:80
	ds_load_2addr_b32 v[87:88], v83 offset0:68 offset1:128
	ds_load_2addr_b32 v[83:84], v84 offset0:116 offset1:176
	ds_load_2addr_b32 v[85:86], v86 offset0:36 offset1:96
	ds_load_2addr_b32 v[89:90], v89 offset0:84 offset1:144
	s_and_saveexec_b32 s0, vcc_lo
	s_cbranch_execz .LBB0_11
; %bb.10:
	v_add_nc_u32_e32 v71, 0x280, v111
	v_add_nc_u32_e32 v72, 0x900, v111
	;; [unrolled: 1-line block ×3, first 2 shown]
	ds_load_2addr_b32 v[77:78], v71 offset0:20 offset1:236
	v_add_nc_u32_e32 v71, 0x1700, v111
	ds_load_2addr_b32 v[79:80], v72 offset0:36 offset1:252
	v_add_nc_u32_e32 v72, 0x1d80, v111
	ds_load_2addr_b32 v[75:76], v73 offset0:20 offset1:236
	ds_load_2addr_b32 v[73:74], v71 offset0:4 offset1:220
	;; [unrolled: 1-line block ×3, first 2 shown]
	s_wait_dscnt 0x4
	v_lshrrev_b32_e32 v125, 16, v77
	v_lshrrev_b32_e32 v128, 16, v78
	s_wait_dscnt 0x3
	v_lshrrev_b32_e32 v124, 16, v79
	v_lshrrev_b32_e32 v129, 16, v80
	;; [unrolled: 3-line block ×5, first 2 shown]
.LBB0_11:
	s_wait_alu 0xfffe
	s_or_b32 exec_lo, exec_lo, s0
	s_wait_dscnt 0xa
	v_lshrrev_b32_e32 v146, 16, v107
	s_wait_dscnt 0x8
	v_lshrrev_b32_e32 v147, 16, v109
	s_wait_dscnt 0x6
	v_add_f16_e64 v135, v103, v105
	v_sub_f16_e64 v138, v109, v105
	v_lshrrev_b32_e32 v197, 16, v103
	v_lshrrev_b32_e32 v198, 16, v105
	v_sub_f16_e64 v142, v107, v103
	v_lshrrev_b32_e32 v133, 16, v101
	v_add_f16_e64 v143, v146, v147
	v_fma_f16 v135, -0.5, v135, v101
	v_sub_f16_e64 v140, v146, v147
	v_add_f16_e64 v193, v142, v138
	v_sub_f16_e64 v142, v197, v198
	v_fma_f16 v138, -0.5, v143, v133
	v_add_f16_e64 v149, v197, v198
	v_fma_f16 v143, 0x3b9c, v140, v135
	v_fmac_f16_e64 v135, 0xbb9c, v140
	v_sub_f16_e64 v211, v94, v96
	v_lshrrev_b32_e32 v218, 16, v94
	v_fmac_f16_e64 v133, -0.5, v149
	v_fmac_f16_e64 v143, 0xb8b4, v142
	v_fmac_f16_e64 v135, 0x38b4, v142
	v_sub_f16_e64 v149, v146, v197
	v_lshrrev_b32_e32 v219, 16, v98
	v_lshrrev_b32_e32 v221, 16, v96
	v_fmac_f16_e64 v143, 0x34f2, v193
	v_fmac_f16_e64 v135, 0x34f2, v193
	v_sub_f16_e64 v193, v147, v198
	s_wait_dscnt 0x5
	v_lshrrev_b32_e32 v222, 16, v100
	v_lshrrev_b32_e32 v217, 16, v92
	v_sub_f16_e64 v146, v197, v146
	v_sub_f16_e64 v147, v198, v147
	v_add_f16_e64 v201, v149, v193
	v_sub_f16_e64 v149, v107, v109
	v_sub_f16_e64 v193, v103, v105
	v_sub_f16_e64 v214, v219, v222
	v_sub_f16_e64 v197, v105, v109
	v_sub_f16_e64 v198, v103, v107
	v_fma_f16 v199, 0xbb9c, v149, v133
	v_fmac_f16_e64 v133, 0x3b9c, v149
	v_sub_f16_e64 v216, v221, v222
	global_wb scope:SCOPE_SE
	s_wait_dscnt 0x0
	v_add_f16_e64 v197, v198, v197
	v_fmac_f16_e64 v199, 0x38b4, v193
	v_fmac_f16_e64 v133, 0xb8b4, v193
	v_add_f16_e64 v198, v146, v147
	v_sub_f16_e64 v146, v221, v218
	v_sub_f16_e64 v147, v222, v219
	v_fmac_f16_e64 v199, 0x34f2, v201
	v_fmac_f16_e64 v133, 0x34f2, v201
	v_sub_f16_e64 v201, v98, v100
	s_barrier_signal -1
	s_barrier_wait -1
	global_inv scope:SCOPE_SE
	v_add_f16_e64 v213, v211, v201
	v_add_f16_e64 v201, v218, v219
	;; [unrolled: 1-line block ×3, first 2 shown]
	s_delay_alu instid0(VALU_DEP_2) | instskip(NEXT) | instid1(VALU_DEP_2)
	v_fma_f16 v201, -0.5, v201, v217
	v_fmac_f16_e64 v217, -0.5, v211
	v_sub_f16_e64 v211, v218, v221
	s_delay_alu instid0(VALU_DEP_1) | instskip(SKIP_2) | instid1(VALU_DEP_2)
	v_add_f16_e64 v215, v211, v214
	v_sub_f16_e64 v211, v94, v98
	v_sub_f16_e64 v214, v96, v100
	v_fma_f16 v226, 0xbb9c, v211, v217
	v_fmac_f16_e64 v217, 0x3b9c, v211
	s_delay_alu instid0(VALU_DEP_2) | instskip(NEXT) | instid1(VALU_DEP_2)
	v_fmac_f16_e64 v226, 0x38b4, v214
	v_fmac_f16_e64 v217, 0xb8b4, v214
	s_delay_alu instid0(VALU_DEP_2) | instskip(NEXT) | instid1(VALU_DEP_2)
	v_fmac_f16_e64 v226, 0x34f2, v215
	v_fmac_f16_e64 v217, 0x34f2, v215
	v_add_f16_e64 v215, v96, v100
	s_delay_alu instid0(VALU_DEP_1) | instskip(SKIP_3) | instid1(VALU_DEP_3)
	v_fma_f16 v225, -0.5, v215, v92
	v_sub_f16_e64 v215, v218, v219
	v_sub_f16_e64 v218, v100, v98
	v_sub_f16_e64 v219, v96, v94
	v_fma_f16 v227, 0x3b9c, v215, v225
	v_fmac_f16_e64 v225, 0xbb9c, v215
	s_delay_alu instid0(VALU_DEP_3) | instskip(SKIP_4) | instid1(VALU_DEP_3)
	v_add_f16_e64 v218, v219, v218
	v_add_f16_e64 v219, v146, v147
	;; [unrolled: 1-line block ×3, first 2 shown]
	v_fmac_f16_e64 v227, 0xb8b4, v216
	v_fmac_f16_e64 v225, 0x38b4, v216
	v_fma_f16 v221, -0.5, v146, v92
	s_delay_alu instid0(VALU_DEP_3) | instskip(NEXT) | instid1(VALU_DEP_3)
	v_fmac_f16_e64 v227, 0x34f2, v213
	v_fmac_f16_e64 v225, 0x34f2, v213
	v_mul_f16_e64 v213, 0xbb9c, v217
	v_mul_f16_e64 v217, 0xb4f2, v217
	v_fma_f16 v146, 0x3b9c, v214, v201
	v_fma_f16 v147, 0xbb9c, v216, v221
	v_fmac_f16_e64 v201, 0xbb9c, v214
	v_fmac_f16_e64 v213, 0xb4f2, v225
	;; [unrolled: 1-line block ×3, first 2 shown]
	v_mul_f16_e64 v225, 0xbb9c, v226
	v_mul_f16_e64 v226, 0x34f2, v226
	v_fmac_f16_e64 v146, 0x38b4, v211
	v_fmac_f16_e64 v147, 0xb8b4, v215
	v_add_f16_e64 v229, v133, v217
	v_fmac_f16_e64 v225, 0x34f2, v227
	v_fmac_f16_e64 v226, 0x3b9c, v227
	v_add_f16_e64 v227, v135, v213
	v_fmac_f16_e64 v146, 0x34f2, v219
	v_fmac_f16_e64 v147, 0x34f2, v218
	;; [unrolled: 1-line block ×4, first 2 shown]
	v_pack_b32_f16 v230, v227, v229
	v_add_f16_e64 v227, v143, v225
	v_add_f16_e64 v229, v199, v226
	v_mul_f16_e64 v222, 0xb8b4, v146
	v_sub_f16_e64 v143, v143, v225
	v_pk_add_f16 v92, v92, v96
	v_fmac_f16_e64 v221, 0x38b4, v215
	v_pack_b32_f16 v229, v227, v229
	v_fmac_f16_e64 v222, 0x3a79, v147
	v_mul_f16_e64 v227, 0x38b4, v147
	v_add_f16_e64 v147, v107, v109
	v_fmac_f16_e64 v201, 0x34f2, v219
	v_pk_add_f16 v92, v92, v94
	v_fmac_f16_e64 v221, 0x34f2, v218
	v_fmac_f16_e64 v227, 0x3a79, v146
	v_sub_f16_e64 v146, v199, v226
	v_fma_f16 v199, -0.5, v147, v101
	v_fma_f16 v226, 0x3b9c, v193, v138
	v_pk_add_f16 v101, v101, v103
	v_fmac_f16_e64 v138, 0xbb9c, v193
	v_mul_f16_e64 v193, 0xba79, v201
	v_fma_f16 v225, 0xbb9c, v142, v199
	v_fmac_f16_e64 v226, 0x38b4, v149
	v_fmac_f16_e64 v199, 0x3b9c, v142
	v_pk_add_f16 v101, v101, v107
	v_fmac_f16_e64 v138, 0xb8b4, v149
	v_fmac_f16_e64 v225, 0xb8b4, v140
	;; [unrolled: 1-line block ×4, first 2 shown]
	v_mul_f16_e64 v149, 0xb8b4, v201
	v_pk_add_f16 v94, v101, v109
	v_fmac_f16_e64 v225, 0x34f2, v197
	v_pk_add_f16 v92, v92, v98
	v_pack_b32_f16 v147, v143, v146
	v_sub_f16_e64 v146, v226, v227
	v_fmac_f16_e64 v199, 0x34f2, v197
	v_sub_f16_e64 v143, v225, v222
	v_fmac_f16_e64 v138, 0x34f2, v198
	v_fmac_f16_e64 v149, 0xba79, v221
	;; [unrolled: 1-line block ×3, first 2 shown]
	v_pk_add_f16 v94, v94, v105
	v_pk_add_f16 v92, v92, v100
	v_pack_b32_f16 v146, v143, v146
	v_add_f16_e64 v142, v225, v222
	v_add_f16_e64 v140, v226, v227
	v_sub_f16_e64 v98, v133, v217
	v_pk_add_f16 v100, v94, v92
	v_pk_add_f16 v143, v94, v92 neg_lo:[0,1] neg_hi:[0,1]
	v_add_f16_e64 v92, v199, v149
	v_add_f16_e64 v94, v138, v193
	v_pack_b32_f16 v101, v142, v140
	v_sub_f16_e64 v96, v138, v193
	v_sub_f16_e32 v103, v108, v110
	v_lshrrev_b32_e32 v105, 16, v108
	v_pack_b32_f16 v142, v92, v94
	v_sub_f16_e64 v92, v135, v213
	v_sub_f16_e64 v94, v199, v149
	ds_store_2addr_b64 v206, v[100:101], v[229:230] offset1:1
	ds_store_2addr_b64 v206, v[142:143], v[146:147] offset0:2 offset1:3
	v_sub_f16_e32 v100, v110, v106
	v_pack_b32_f16 v197, v92, v98
	v_pk_add_f16 v92, v102, v104
	v_pack_b32_f16 v198, v94, v96
	v_add_f16_e32 v94, v108, v110
	v_lshrrev_b32_e32 v96, 16, v110
	v_sub_f16_e32 v98, v106, v110
	v_pk_add_f16 v92, v92, v108
	v_sub_f16_e32 v107, v104, v108
	v_sub_f16_e32 v101, v108, v104
	v_add_f16_e32 v108, v104, v106
	v_lshrrev_b32_e32 v109, 16, v104
	v_pk_add_f16 v92, v92, v110
	v_sub_f16_e32 v104, v104, v106
	v_sub_f16_e32 v110, v105, v96
	v_fma_f16 v108, -0.5, v108, v102
	v_fma_f16 v94, -0.5, v94, v102
	v_pk_add_f16 v92, v92, v106
	v_lshrrev_b32_e32 v106, 16, v106
	v_lshrrev_b32_e32 v102, 16, v102
	v_add_f16_e64 v133, v105, v96
	v_fma_f16 v138, 0x3b9c, v110, v108
	v_fmac_f16_e32 v108, 0xbb9c, v110
	v_add_f16_e64 v135, v109, v106
	v_sub_f16_e64 v140, v109, v106
	v_fma_f16 v133, -0.5, v133, v102
	v_add_f16_e32 v100, v101, v100
	v_sub_f16_e32 v101, v105, v109
	v_fmac_f16_e64 v102, -0.5, v135
	v_fmac_f16_e64 v138, 0xb8b4, v140
	v_fmac_f16_e64 v108, 0x38b4, v140
	v_sub_f16_e64 v135, v96, v106
	v_lshrrev_b32_e32 v143, 16, v83
	v_fma_f16 v142, 0xbb9c, v103, v102
	v_fmac_f16_e32 v102, 0x3b9c, v103
	v_fmac_f16_e64 v138, 0x34f2, v100
	v_fmac_f16_e32 v108, 0x34f2, v100
	v_add_f16_e64 v100, v101, v135
	v_fmac_f16_e64 v142, 0x38b4, v104
	v_fmac_f16_e32 v102, 0xb8b4, v104
	v_sub_f16_e32 v101, v85, v89
	v_sub_f16_e64 v135, v83, v87
	v_lshrrev_b32_e32 v146, 16, v85
	v_fmac_f16_e64 v142, 0x34f2, v100
	v_fmac_f16_e32 v102, 0x34f2, v100
	v_lshrrev_b32_e32 v149, 16, v87
	v_add_f16_e64 v100, v135, v101
	v_add_f16_e64 v101, v143, v146
	v_lshrrev_b32_e32 v135, 16, v81
	v_lshrrev_b32_e32 v193, 16, v89
	ds_store_b64 v206, v[197:198] offset:32
	v_add_f16_e32 v98, v107, v98
	v_fma_f16 v107, 0xbb9c, v140, v94
	v_fma_f16 v147, -0.5, v101, v135
	v_add_f16_e64 v101, v149, v193
	v_sub_f16_e64 v197, v146, v193
	v_fmac_f16_e64 v94, 0x3b9c, v140
	v_sub_f16_e64 v199, v87, v89
	v_sub_f16_e32 v96, v106, v96
	v_fmac_f16_e64 v135, -0.5, v101
	v_sub_f16_e64 v101, v143, v149
	v_fma_f16 v106, 0x3b9c, v104, v133
	v_fmac_f16_e64 v133, 0xbb9c, v104
	v_fmac_f16_e32 v107, 0xb8b4, v110
	v_fmac_f16_e32 v94, 0x38b4, v110
	v_add_f16_e64 v101, v101, v197
	v_sub_f16_e64 v197, v83, v85
	v_sub_f16_e32 v105, v109, v105
	v_fmac_f16_e32 v106, 0x38b4, v103
	v_fmac_f16_e64 v133, 0xb8b4, v103
	v_fmac_f16_e32 v107, 0x34f2, v98
	v_fma_f16 v198, 0xbb9c, v197, v135
	v_fmac_f16_e64 v135, 0x3b9c, v197
	v_fmac_f16_e32 v94, 0x34f2, v98
	v_sub_f16_e32 v98, v89, v85
	v_sub_f16_e32 v103, v87, v83
	v_fmac_f16_e64 v198, 0x38b4, v199
	v_fmac_f16_e64 v135, 0xb8b4, v199
	v_add_f16_e32 v109, v83, v85
	v_sub_f16_e64 v211, v149, v193
	v_add_f16_e32 v96, v105, v96
	v_fmac_f16_e64 v198, 0x34f2, v101
	v_fmac_f16_e64 v135, 0x34f2, v101
	v_add_f16_e32 v101, v87, v89
	v_add_f16_e32 v98, v103, v98
	v_sub_f16_e64 v103, v149, v143
	v_sub_f16_e64 v104, v193, v146
	v_fma_f16 v105, 0x3b9c, v199, v147
	v_fma_f16 v109, -0.5, v109, v81
	v_fma_f16 v101, -0.5, v101, v81
	v_sub_f16_e64 v201, v143, v146
	v_fmac_f16_e64 v147, 0xbb9c, v199
	v_add_f16_e32 v103, v103, v104
	v_fma_f16 v110, 0xbb9c, v211, v109
	v_fmac_f16_e64 v105, 0x38b4, v197
	v_fma_f16 v206, 0x3b9c, v201, v101
	v_fmac_f16_e64 v101, 0xbb9c, v201
	v_fmac_f16_e64 v109, 0x3b9c, v211
	;; [unrolled: 1-line block ×4, first 2 shown]
	v_fmac_f16_e32 v105, 0x34f2, v103
	v_fmac_f16_e64 v101, 0x38b4, v211
	v_fmac_f16_e64 v109, 0x38b4, v201
	;; [unrolled: 1-line block ×3, first 2 shown]
	v_fmac_f16_e32 v110, 0x34f2, v98
	v_mul_f16_e32 v103, 0xb8b4, v105
	v_fmac_f16_e64 v206, 0xb8b4, v211
	v_fmac_f16_e32 v101, 0x34f2, v100
	v_mul_f16_e64 v213, 0xbb9c, v135
	v_mul_f16_e64 v135, 0xb4f2, v135
	v_fmac_f16_e32 v106, 0x34f2, v96
	v_fmac_f16_e64 v133, 0x34f2, v96
	v_fmac_f16_e32 v109, 0x34f2, v98
	v_fmac_f16_e32 v103, 0x3a79, v110
	v_mul_f16_e32 v96, 0x38b4, v110
	v_mul_f16_e64 v98, 0xb8b4, v147
	v_pk_add_f16 v110, v91, v95
	v_fmac_f16_e64 v206, 0x34f2, v100
	v_fmac_f16_e64 v213, 0xb4f2, v101
	v_fmac_f16_e64 v135, 0x3b9c, v101
	v_mul_f16_e64 v214, 0xbb9c, v198
	v_fmac_f16_e32 v96, 0x3a79, v105
	v_fmac_f16_e32 v98, 0xba79, v109
	v_pk_add_f16 v105, v110, v93
	v_add_f16_e64 v100, v108, v213
	v_fmac_f16_e64 v214, 0x34f2, v206
	v_add_f16_e64 v101, v102, v135
	v_mul_f16_e64 v104, 0xba79, v147
	v_pk_add_f16 v105, v105, v97
	v_add_f16_e32 v110, v94, v98
	v_sub_f16_e32 v94, v94, v98
	v_add_f16_e32 v98, v106, v96
	v_sub_f16_e32 v96, v106, v96
	v_lshrrev_b32_e32 v106, 16, v99
	v_lshrrev_b32_e32 v146, 16, v95
	v_add_f16_e64 v149, v93, v97
	v_pack_b32_f16 v101, v100, v101
	v_add_f16_e64 v100, v138, v214
	v_fmac_f16_e32 v104, 0x38b4, v109
	v_add_f16_e32 v109, v107, v103
	v_sub_f16_e32 v103, v107, v103
	v_sub_f16_e64 v107, v138, v214
	v_pk_add_f16 v105, v105, v99
	v_add_f16_e64 v138, v95, v99
	v_sub_f16_e64 v140, v99, v97
	v_sub_f16_e64 v143, v97, v99
	v_sub_f16_e32 v99, v95, v99
	v_sub_f16_e64 v147, v95, v93
	v_sub_f16_e32 v95, v93, v95
	v_lshrrev_b32_e32 v193, 16, v93
	v_sub_f16_e32 v93, v93, v97
	v_lshrrev_b32_e32 v97, 16, v97
	v_fma_f16 v149, -0.5, v149, v91
	v_sub_f16_e64 v197, v146, v106
	v_sub_f16_e64 v102, v102, v135
	v_add_f16_e64 v135, v133, v104
	v_sub_f16_e64 v104, v133, v104
	v_add_f16_e64 v133, v147, v140
	v_fma_f16 v140, 0xbb9c, v197, v149
	v_sub_f16_e64 v147, v193, v97
	v_fmac_f16_e64 v149, 0x3b9c, v197
	v_mul_f16_e64 v198, 0x34f2, v198
	v_fma_f16 v138, -0.5, v138, v91
	v_lshrrev_b32_e32 v91, 16, v91
	v_fmac_f16_e64 v140, 0xb8b4, v147
	v_fmac_f16_e64 v149, 0x38b4, v147
	;; [unrolled: 1-line block ×3, first 2 shown]
	v_add_f16_e64 v95, v95, v143
	v_add_f16_e64 v143, v146, v106
	v_fmac_f16_e64 v140, 0x34f2, v133
	v_fmac_f16_e64 v149, 0x34f2, v133
	v_add_f16_e64 v133, v193, v97
	v_add_f16_e64 v206, v142, v198
	v_sub_f16_e64 v142, v142, v198
	v_fma_f16 v198, 0x3b9c, v147, v138
	v_fmac_f16_e64 v138, 0xbb9c, v147
	v_fma_f16 v133, -0.5, v133, v91
	v_pk_add_f16 v81, v81, v87
	v_pk_add_f16 v87, v82, v88
	v_fmac_f16_e64 v198, 0xb8b4, v197
	v_fmac_f16_e64 v138, 0x38b4, v197
	v_sub_f16_e64 v147, v146, v193
	v_sub_f16_e64 v197, v106, v97
	v_fmac_f16_e64 v91, -0.5, v143
	v_sub_f16_e64 v143, v193, v146
	v_fma_f16 v146, 0x3b9c, v99, v133
	v_fmac_f16_e64 v133, 0xbb9c, v99
	v_pk_add_f16 v81, v81, v83
	v_pk_add_f16 v83, v87, v84
	v_fmac_f16_e64 v198, 0x34f2, v95
	v_fmac_f16_e64 v138, 0x34f2, v95
	v_add_f16_e64 v95, v147, v197
	v_sub_f16_e32 v97, v97, v106
	v_fmac_f16_e64 v146, 0x38b4, v93
	v_fmac_f16_e64 v133, 0xb8b4, v93
	v_fmamk_f16 v106, v93, 0xbb9c, v91
	v_fmac_f16_e32 v91, 0x3b9c, v93
	v_pk_add_f16 v81, v81, v85
	v_pk_add_f16 v83, v83, v86
	v_fmac_f16_e64 v146, 0x34f2, v95
	v_fmac_f16_e64 v133, 0x34f2, v95
	v_add_f16_e64 v85, v143, v97
	v_fmac_f16_e32 v106, 0x38b4, v99
	v_fmac_f16_e32 v91, 0xb8b4, v99
	v_pk_add_f16 v87, v81, v89
	v_pk_add_f16 v93, v83, v90
	v_lshrrev_b32_e32 v81, 16, v90
	v_sub_f16_e32 v83, v90, v86
	v_add_f16_e32 v89, v88, v90
	v_sub_f16_e32 v95, v86, v90
	v_sub_f16_e32 v90, v88, v90
	v_lshrrev_b32_e32 v97, 16, v88
	v_sub_f16_e32 v99, v88, v84
	v_sub_f16_e32 v88, v84, v88
	v_add_f16_e64 v143, v84, v86
	v_lshrrev_b32_e32 v147, 16, v84
	v_sub_f16_e32 v84, v84, v86
	v_lshrrev_b32_e32 v86, 16, v86
	v_fmac_f16_e32 v106, 0x34f2, v85
	v_fmac_f16_e32 v91, 0x34f2, v85
	v_fma_f16 v85, -0.5, v143, v82
	v_fma_f16 v89, -0.5, v89, v82
	v_lshrrev_b32_e32 v82, 16, v82
	v_add_f16_e64 v143, v147, v86
	v_add_f16_e64 v197, v97, v81
	v_add_f16_e32 v83, v99, v83
	v_sub_f16_e64 v99, v147, v86
	v_sub_f16_e64 v193, v97, v147
	;; [unrolled: 1-line block ×3, first 2 shown]
	v_sub_f16_e32 v97, v97, v81
	v_sub_f16_e64 v199, v81, v86
	v_sub_f16_e32 v81, v86, v81
	v_fma_f16 v86, -0.5, v143, v82
	v_fmac_f16_e64 v82, -0.5, v197
	v_add_f16_e32 v88, v88, v95
	v_add_f16_e64 v95, v193, v199
	v_add_f16_e64 v81, v147, v81
	v_fma_f16 v193, 0xbb9c, v97, v85
	v_fma_f16 v147, 0xbb9c, v84, v82
	v_fmac_f16_e32 v82, 0x3b9c, v84
	v_fma_f16 v197, 0x3b9c, v90, v86
	v_fmac_f16_e32 v86, 0xbb9c, v90
	;; [unrolled: 2-line block ×3, first 2 shown]
	v_fmac_f16_e32 v85, 0x3b9c, v97
	v_fmac_f16_e64 v147, 0x38b4, v90
	v_fmac_f16_e32 v82, 0xb8b4, v90
	v_fmac_f16_e64 v197, 0x38b4, v84
	v_fmac_f16_e64 v193, 0xb8b4, v99
	v_fmac_f16_e32 v86, 0xb8b4, v84
	v_fmac_f16_e64 v143, 0xb8b4, v97
	v_fmac_f16_e32 v89, 0x38b4, v97
	;; [unrolled: 2-line block ×3, first 2 shown]
	v_fmac_f16_e64 v197, 0x34f2, v95
	v_fmac_f16_e64 v193, 0x34f2, v83
	v_fmac_f16_e32 v85, 0x38b4, v99
	v_fmac_f16_e32 v86, 0x34f2, v95
	v_fmac_f16_e64 v143, 0x34f2, v88
	v_fmac_f16_e32 v89, 0x34f2, v88
	v_mul_f16_e64 v81, 0xb8b4, v197
	v_mul_f16_e64 v84, 0x38b4, v193
	;; [unrolled: 1-line block ×3, first 2 shown]
	v_fmac_f16_e32 v85, 0x34f2, v83
	v_mul_f16_e64 v83, 0x34f2, v147
	v_mul_f16_e32 v90, 0xbb9c, v82
	v_mul_f16_e32 v82, 0xb4f2, v82
	;; [unrolled: 1-line block ×4, first 2 shown]
	v_fmac_f16_e64 v81, 0x3a79, v193
	v_fmac_f16_e64 v84, 0x3a79, v197
	;; [unrolled: 1-line block ×4, first 2 shown]
	v_fmac_f16_e32 v90, 0xb4f2, v89
	v_fmac_f16_e32 v82, 0x3b9c, v89
	;; [unrolled: 1-line block ×4, first 2 shown]
	v_sub_f16_e64 v108, v108, v213
	v_add_f16_e64 v97, v140, v81
	v_sub_f16_e64 v99, v140, v81
	v_add_f16_e64 v140, v198, v88
	v_add_f16_e64 v147, v138, v90
	v_sub_f16_e64 v138, v138, v90
	v_add_f16_e64 v193, v149, v95
	v_sub_f16_e64 v149, v149, v95
	;; [unrolled: 2-line block ×3, first 2 shown]
	v_add_f16_e64 v146, v106, v83
	v_add_f16_e64 v197, v91, v82
	v_sub_f16_e64 v143, v198, v88
	v_sub_f16_e32 v106, v106, v83
	v_add_f16_e64 v199, v133, v86
	v_pack_b32_f16 v100, v100, v206
	v_sub_f16_e64 v198, v91, v82
	v_sub_f16_e64 v133, v133, v86
	v_pack_b32_f16 v82, v109, v98
	v_pk_add_f16 v81, v92, v87
	v_pk_add_f16 v84, v92, v87 neg_lo:[0,1] neg_hi:[0,1]
	v_pack_b32_f16 v86, v107, v142
	v_pack_b32_f16 v85, v103, v96
	;; [unrolled: 1-line block ×5, first 2 shown]
	v_pk_add_f16 v89, v105, v93
	v_pack_b32_f16 v92, v147, v197
	v_pack_b32_f16 v91, v140, v146
	;; [unrolled: 1-line block ×3, first 2 shown]
	v_pk_add_f16 v94, v105, v93 neg_lo:[0,1] neg_hi:[0,1]
	v_pack_b32_f16 v96, v143, v106
	v_pack_b32_f16 v95, v99, v95
	v_pack_b32_f16 v93, v193, v199
	v_pack_b32_f16 v98, v149, v133
	v_pack_b32_f16 v97, v138, v198
	ds_store_2addr_b64 v188, v[81:82], v[100:101] offset1:1
	ds_store_2addr_b64 v188, v[83:84], v[85:86] offset0:2 offset1:3
	ds_store_b64 v188, v[87:88] offset:32
	ds_store_2addr_b64 v191, v[89:90], v[91:92] offset1:1
	ds_store_2addr_b64 v191, v[93:94], v[95:96] offset0:2 offset1:3
	ds_store_b64 v191, v[97:98] offset:32
	s_and_saveexec_b32 s0, vcc_lo
	s_cbranch_execz .LBB0_13
; %bb.12:
	v_sub_f16_e32 v82, v124, v122
	v_sub_f16_e64 v83, v179, v178
	v_sub_f16_e32 v84, v80, v76
	v_sub_f16_e64 v86, v129, v127
	v_sub_f16_e64 v87, v180, v181
	v_sub_f16_e32 v90, v72, v74
	v_add_f16_e64 v92, v129, v180
	v_add_f16_e32 v94, v80, v72
	v_add_f16_e64 v97, v124, v179
	v_add_f16_e32 v81, v76, v74
	v_sub_f16_e32 v89, v76, v74
	v_sub_f16_e64 v91, v127, v181
	v_add_f16_e32 v86, v86, v87
	v_sub_f16_e32 v87, v122, v124
	v_sub_f16_e64 v93, v178, v179
	v_add_f16_e32 v84, v84, v90
	v_add_f16_e32 v82, v82, v83
	v_fma_f16 v83, -0.5, v92, v128
	v_fma_f16 v90, -0.5, v94, v78
	v_sub_f16_e32 v95, v76, v80
	v_sub_f16_e32 v96, v74, v72
	;; [unrolled: 1-line block ×3, first 2 shown]
	v_fma_f16 v97, -0.5, v97, v125
	v_sub_f16_e32 v85, v80, v72
	v_fma_f16 v81, -0.5, v81, v78
	v_sub_f16_e64 v88, v129, v180
	v_add_f16_e32 v87, v87, v93
	v_sub_f16_e64 v92, v127, v129
	v_sub_f16_e64 v93, v181, v180
	v_fmamk_f16 v94, v89, 0x3b9c, v83
	v_fmac_f16_e32 v83, 0xbb9c, v89
	v_add_f16_e32 v95, v95, v96
	v_fmamk_f16 v96, v91, 0xbb9c, v90
	v_fmac_f16_e32 v90, 0x3b9c, v91
	v_fmamk_f16 v99, v98, 0x3b9c, v97
	v_sub_f16_e32 v100, v79, v71
	v_fmac_f16_e32 v97, 0xbb9c, v98
	v_add_f16_e64 v101, v122, v178
	v_add_f16_e32 v92, v92, v93
	v_fmamk_f16 v93, v88, 0x3b9c, v81
	v_fmac_f16_e32 v94, 0xb8b4, v85
	v_fmac_f16_e32 v83, 0x38b4, v85
	;; [unrolled: 1-line block ×7, first 2 shown]
	v_fma_f16 v88, -0.5, v101, v125
	v_fmac_f16_e32 v94, 0x34f2, v92
	v_fmac_f16_e32 v83, 0x34f2, v92
	v_add_f16_e64 v92, v127, v181
	v_fmac_f16_e32 v99, 0x34f2, v87
	v_fmac_f16_e32 v97, 0x34f2, v87
	v_fmamk_f16 v87, v100, 0xbb9c, v88
	v_fmac_f16_e32 v88, 0x3b9c, v100
	v_fma_f16 v92, -0.5, v92, v128
	v_add_f16_e32 v100, v79, v71
	v_fmac_f16_e32 v93, 0x38b4, v91
	v_fmac_f16_e32 v87, 0xb8b4, v98
	;; [unrolled: 1-line block ×3, first 2 shown]
	v_fmamk_f16 v102, v85, 0xbb9c, v92
	v_fmac_f16_e32 v92, 0x3b9c, v85
	v_fmac_f16_e32 v81, 0xb8b4, v91
	;; [unrolled: 1-line block ×4, first 2 shown]
	v_add_f16_e32 v82, v75, v73
	v_fmac_f16_e32 v92, 0x38b4, v89
	v_sub_f16_e64 v101, v124, v179
	v_sub_f16_e32 v103, v79, v75
	v_fma_f16 v100, -0.5, v100, v77
	v_fma_f16 v82, -0.5, v82, v77
	v_add_f16_e32 v77, v77, v79
	v_add_f16_e32 v78, v78, v80
	v_sub_f16_e32 v79, v75, v79
	v_sub_f16_e32 v80, v73, v71
	v_fmac_f16_e32 v93, 0x34f2, v84
	v_fmac_f16_e32 v81, 0x34f2, v84
	v_mul_f16_e32 v84, 0xb4f2, v94
	v_fmac_f16_e32 v92, 0x34f2, v86
	v_sub_f16_e64 v104, v122, v178
	v_sub_f16_e32 v105, v71, v73
	v_add_f16_e32 v79, v79, v80
	v_mul_f16_e32 v80, 0xbb9c, v94
	v_fmamk_f16 v94, v101, 0x3b9c, v82
	v_fmac_f16_e32 v82, 0xbb9c, v101
	v_add_f16_e32 v75, v77, v75
	v_add_f16_e32 v76, v78, v76
	;; [unrolled: 1-line block ×3, first 2 shown]
	v_mul_f16_e32 v78, 0xb8b4, v92
	v_fmac_f16_e32 v82, 0xb8b4, v104
	v_add_f16_e32 v73, v75, v73
	v_add_f16_e32 v74, v76, v74
	v_fmac_f16_e32 v90, 0x34f2, v95
	v_mul_f16_e32 v98, 0x34f2, v83
	v_mul_f16_e32 v77, 0xbb9c, v83
	v_fmac_f16_e32 v82, 0x34f2, v103
	v_fmac_f16_e32 v78, 0x3a79, v81
	v_add_f16_e32 v71, v73, v71
	v_add_f16_e32 v72, v74, v72
	v_fmac_f16_e32 v98, 0x3b9c, v90
	v_fmac_f16_e32 v77, 0x34f2, v90
	v_sub_f16_e32 v83, v82, v78
	v_add_f16_e32 v78, v82, v78
	v_sub_f16_e32 v90, v71, v72
	v_add_f16_e32 v82, v71, v72
	scratch_load_b32 v71, off, off offset:192 th:TH_LOAD_LU ; 4-byte Folded Reload
	v_fmac_f16_e32 v102, 0xb8b4, v89
	v_fmac_f16_e32 v96, 0x34f2, v95
	v_add_f16_e64 v91, v128, v129
	v_add_f16_e32 v95, v125, v124
	v_fmac_f16_e32 v94, 0x38b4, v104
	v_fmac_f16_e32 v102, 0x34f2, v86
	v_mul_f16_e32 v86, 0x38b4, v81
	v_add_f16_e32 v89, v91, v127
	v_add_f16_e32 v95, v95, v122
	v_fmac_f16_e32 v84, 0x3b9c, v96
	v_mul_f16_e32 v85, 0xba79, v102
	v_mul_f16_e32 v102, 0xb8b4, v102
	v_add_f16_e64 v89, v89, v181
	v_add_f16_e64 v95, v95, v178
	v_fmac_f16_e32 v86, 0x3a79, v92
	v_fmac_f16_e32 v85, 0x38b4, v93
	v_fmac_f16_e32 v102, 0xba79, v93
	v_fmamk_f16 v93, v104, 0xbb9c, v100
	v_fmac_f16_e32 v100, 0x3b9c, v104
	v_add_f16_e64 v95, v95, v179
	v_add_f16_e64 v89, v89, v180
	v_fmac_f16_e32 v80, 0xb4f2, v96
	v_fmac_f16_e32 v93, 0x38b4, v101
	;; [unrolled: 1-line block ×4, first 2 shown]
	v_sub_f16_e32 v106, v99, v84
	v_add_f16_e32 v73, v99, v84
	v_fmac_f16_e32 v93, 0x34f2, v79
	v_fmac_f16_e32 v100, 0x34f2, v79
	v_add_f16_e32 v74, v97, v98
	v_add_f16_e32 v76, v88, v86
	;; [unrolled: 1-line block ×3, first 2 shown]
	v_sub_f16_e32 v81, v93, v80
	v_sub_f16_e32 v75, v100, v77
	v_add_f16_e32 v80, v93, v80
	v_add_f16_e32 v77, v100, v77
	v_sub_f16_e32 v91, v87, v85
	v_sub_f16_e32 v105, v97, v98
	;; [unrolled: 1-line block ×4, first 2 shown]
	v_add_f16_e32 v85, v87, v85
	v_add_f16_e32 v86, v94, v102
	v_sub_f16_e32 v79, v94, v102
	v_pack_b32_f16 v72, v80, v73
	v_pack_b32_f16 v73, v82, v84
	s_delay_alu instid0(VALU_DEP_3)
	v_pack_b32_f16 v80, v79, v91
	v_pack_b32_f16 v79, v81, v106
	s_wait_loadcnt 0x0
	v_lshlrev_b32_e32 v87, 2, v71
	v_pack_b32_f16 v71, v77, v74
	v_pack_b32_f16 v74, v78, v76
	;; [unrolled: 1-line block ×6, first 2 shown]
	ds_store_2addr_b64 v87, v[73:74], v[71:72] offset1:1
	ds_store_2addr_b64 v87, v[77:78], v[75:76] offset0:2 offset1:3
	ds_store_b64 v87, v[79:80] offset:32
.LBB0_13:
	s_wait_alu 0xfffe
	s_or_b32 exec_lo, exec_lo, s0
	v_add_nc_u32_e32 v74, 0x400, v111
	global_wb scope:SCOPE_SE
	s_wait_dscnt 0x0
	s_barrier_signal -1
	s_barrier_wait -1
	global_inv scope:SCOPE_SE
	ds_load_2addr_b32 v[76:77], v74 offset0:104 offset1:164
	v_add_nc_u32_e32 v73, 0xa00, v111
	ds_load_2addr_b32 v[107:108], v111 offset1:60
	s_mov_b32 s10, 0xc901e574
	s_mov_b32 s11, 0x3f3e573a
	s_mul_i32 s9, s13, 0x6c0
	ds_load_2addr_b32 v[78:79], v73 offset0:80 offset1:140
	s_wait_dscnt 0x2
	v_lshrrev_b32_e32 v71, 16, v76
	v_mul_f16_e64 v72, v238, v76
	s_delay_alu instid0(VALU_DEP_2) | instskip(NEXT) | instid1(VALU_DEP_2)
	v_mul_f16_e64 v102, v238, v71
	v_fma_f16 v103, v4, v71, -v72
	s_wait_dscnt 0x0
	v_lshrrev_b32_e32 v71, 16, v78
	v_mul_f16_e64 v72, v237, v78
	v_fmac_f16_e32 v102, v4, v76
	v_lshrrev_b32_e32 v4, 16, v77
	s_delay_alu instid0(VALU_DEP_4) | instskip(NEXT) | instid1(VALU_DEP_4)
	v_mul_f16_e64 v109, v237, v71
	v_fma_f16 v110, v5, v71, -v72
	v_add_nc_u32_e32 v71, 0x1000, v111
	s_delay_alu instid0(VALU_DEP_4) | instskip(NEXT) | instid1(VALU_DEP_4)
	v_mul_f16_e64 v89, v232, v4
	v_fmac_f16_e32 v109, v5, v78
	v_mul_f16_e64 v5, v232, v77
	ds_load_2addr_b32 v[80:81], v71 offset0:56 offset1:116
	v_fmac_f16_e32 v89, v0, v77
	v_fma_f16 v94, v0, v4, -v5
	v_add_nc_u32_e32 v5, 0x600, v111
	s_wait_dscnt 0x0
	v_lshrrev_b32_e32 v72, 16, v80
	v_mul_f16_e64 v75, v236, v80
	v_mul_f16_e64 v76, v233, v81
	s_delay_alu instid0(VALU_DEP_3) | instskip(NEXT) | instid1(VALU_DEP_3)
	v_mul_f16_e64 v122, v236, v72
	v_fma_f16 v124, v6, v72, -v75
	v_add_nc_u32_e32 v75, 0x1400, v111
	s_delay_alu instid0(VALU_DEP_3) | instskip(SKIP_3) | instid1(VALU_DEP_1)
	v_fmac_f16_e32 v122, v6, v80
	v_lshrrev_b32_e32 v6, 16, v79
	ds_load_2addr_b32 v[82:83], v75 offset0:160 offset1:220
	v_mul_f16_e64 v97, v231, v6
	v_fmac_f16_e32 v97, v1, v79
	s_wait_dscnt 0x0
	v_lshrrev_b32_e32 v72, 16, v82
	v_mul_f16_e64 v84, v239, v82
	v_lshrrev_b32_e32 v77, 16, v83
	v_mul_f16_e64 v78, v235, v83
	s_delay_alu instid0(VALU_DEP_4) | instskip(NEXT) | instid1(VALU_DEP_4)
	v_mul_f16_e64 v125, v239, v72
	v_fma_f16 v127, v7, v72, -v84
	v_lshrrev_b32_e32 v72, 16, v81
	v_mul_f16_e64 v98, v235, v77
	v_fma_f16 v99, v3, v77, -v78
	v_fmac_f16_e32 v125, v7, v82
	v_mul_f16_e64 v7, v231, v79
	v_mul_f16_e64 v100, v233, v72
	v_fmac_f16_e32 v98, v3, v83
	v_fma_f16 v104, v2, v72, -v76
	v_add_nc_u32_e32 v76, 0xc00, v111
	v_fma_f16 v101, v1, v6, -v7
	ds_load_2addr_b32 v[0:1], v5 offset0:96 offset1:156
	v_fmac_f16_e32 v100, v2, v81
	s_wait_dscnt 0x0
	v_lshrrev_b32_e32 v2, 16, v0
	v_mul_f16_e64 v3, v251, v0
	s_delay_alu instid0(VALU_DEP_2) | instskip(NEXT) | instid1(VALU_DEP_2)
	v_mul_f16_e64 v83, v251, v2
	v_fma_f16 v84, v32, v2, -v3
	ds_load_2addr_b32 v[2:3], v76 offset0:72 offset1:132
	v_fmac_f16_e32 v83, v32, v0
	v_lshrrev_b32_e32 v0, 16, v1
	s_delay_alu instid0(VALU_DEP_1) | instskip(NEXT) | instid1(VALU_DEP_1)
	v_mul_f16_e64 v32, v247, v0
	v_fmac_f16_e32 v32, v28, v1
	v_mul_f16_e64 v1, v247, v1
	s_wait_dscnt 0x0
	v_lshrrev_b32_e32 v4, 16, v2
	v_mul_f16_e64 v6, v252, v2
	s_delay_alu instid0(VALU_DEP_2) | instskip(NEXT) | instid1(VALU_DEP_2)
	v_mul_f16_e64 v92, v252, v4
	v_fma_f16 v93, v33, v4, -v6
	ds_load_2addr_b32 v[6:7], v71 offset0:176 offset1:236
	v_fmac_f16_e32 v92, v33, v2
	v_lshrrev_b32_e32 v2, 16, v3
	s_wait_dscnt 0x0
	v_lshrrev_b32_e32 v4, 16, v6
	v_mul_f16_e64 v72, v253, v6
	s_delay_alu instid0(VALU_DEP_2) | instskip(NEXT) | instid1(VALU_DEP_2)
	v_mul_f16_e64 v91, v253, v4
	v_fma_f16 v90, v34, v4, -v72
	v_add_nc_u32_e32 v72, 0x1800, v111
	s_delay_alu instid0(VALU_DEP_3)
	v_fmac_f16_e32 v91, v34, v6
	v_mul_f16_e64 v6, v249, v7
	ds_load_2addr_b32 v[77:78], v72 offset0:24 offset1:84
	ds_load_2addr_b32 v[105:106], v72 offset0:144 offset1:204
	s_wait_dscnt 0x1
	v_lshrrev_b32_e32 v4, 16, v77
	v_mul_f16_e64 v79, v254, v77
	v_mul_f16_e64 v33, v250, v78
	s_delay_alu instid0(VALU_DEP_3) | instskip(NEXT) | instid1(VALU_DEP_3)
	v_mul_f16_e64 v96, v254, v4
	v_fma_f16 v95, v35, v4, -v79
	v_lshrrev_b32_e32 v4, 16, v7
	v_mul_f16_e64 v79, v248, v2
	s_delay_alu instid0(VALU_DEP_4) | instskip(NEXT) | instid1(VALU_DEP_3)
	v_fmac_f16_e32 v96, v35, v77
	v_mul_f16_e64 v86, v249, v4
	s_delay_alu instid0(VALU_DEP_3) | instskip(SKIP_2) | instid1(VALU_DEP_4)
	v_fmac_f16_e32 v79, v29, v3
	v_mul_f16_e64 v3, v248, v3
	v_fma_f16 v88, v30, v4, -v6
	v_fmac_f16_e32 v86, v30, v7
	v_lshrrev_b32_e32 v7, 16, v78
	s_delay_alu instid0(VALU_DEP_4) | instskip(NEXT) | instid1(VALU_DEP_2)
	v_fma_f16 v87, v29, v2, -v3
	v_mul_f16_e64 v80, v250, v7
	v_fma_f16 v85, v31, v7, -v33
	s_delay_alu instid0(VALU_DEP_2)
	v_fmac_f16_e32 v80, v31, v78
	v_fma_f16 v78, v28, v0, -v1
	v_add_nc_u32_e32 v28, 0x800, v111
	ds_load_2addr_b32 v[0:1], v28 offset0:88 offset1:148
	s_wait_dscnt 0x0
	v_lshrrev_b32_e32 v2, 16, v0
	v_mul_f16_e32 v3, v121, v0
	s_delay_alu instid0(VALU_DEP_2) | instskip(NEXT) | instid1(VALU_DEP_2)
	v_mul_f16_e32 v29, v121, v2
	v_fma_f16 v31, v20, v2, -v3
	ds_load_2addr_b32 v[2:3], v76 offset0:192 offset1:252
	v_fmac_f16_e32 v29, v20, v0
	v_lshrrev_b32_e32 v0, 16, v1
	s_wait_dscnt 0x0
	v_lshrrev_b32_e32 v4, 16, v2
	v_mul_f16_e32 v6, v123, v2
	s_delay_alu instid0(VALU_DEP_2) | instskip(NEXT) | instid1(VALU_DEP_2)
	v_mul_f16_e32 v35, v123, v4
	v_fma_f16 v77, v21, v4, -v6
	ds_load_2addr_b32 v[6:7], v75 offset0:40 offset1:100
	v_fmac_f16_e32 v35, v21, v2
	v_lshrrev_b32_e32 v2, 16, v3
	s_delay_alu instid0(VALU_DEP_1) | instskip(NEXT) | instid1(VALU_DEP_1)
	v_mul_f16_e32 v20, v113, v2
	v_fmac_f16_e32 v20, v17, v3
	v_mul_f16_e32 v3, v113, v3
	s_wait_dscnt 0x0
	v_lshrrev_b32_e32 v4, 16, v6
	v_mul_f16_e64 v30, v177, v6
	v_mul_f16_e32 v21, v115, v7
	v_fma_f16 v17, v17, v2, -v3
	v_lshrrev_b32_e32 v2, 16, v176
	v_mul_f16_e64 v34, v177, v4
	v_fma_f16 v33, v22, v4, -v30
	v_lshrrev_b32_e32 v4, 16, v105
	v_mul_f16_e32 v30, v126, v105
	v_add_f16_e32 v3, v110, v127
	v_fmac_f16_e32 v34, v22, v6
	v_mul_f16_e64 v6, v255, v0
	v_mul_f16_e32 v82, v126, v4
	v_fma_f16 v81, v23, v4, -v30
	v_lshrrev_b32_e32 v4, 16, v7
	v_lshrrev_b32_e32 v22, 16, v106
	v_fmac_f16_e32 v6, v16, v1
	v_fmac_f16_e32 v82, v23, v105
	v_mul_f16_e64 v1, v255, v1
	v_mul_f16_e32 v30, v115, v4
	v_mul_f16_e32 v105, v117, v106
	;; [unrolled: 1-line block ×3, first 2 shown]
	v_sub_f16_e32 v117, v109, v125
	s_delay_alu instid0(VALU_DEP_4)
	v_fmac_f16_e32 v30, v18, v7
	v_fma_f16 v7, v16, v0, -v1
	v_fma_f16 v16, v19, v22, -v105
	v_add_nc_u32_e32 v22, 0x1c00, v111
	v_fmac_f16_e32 v23, v19, v106
	v_lshrrev_b32_e32 v19, 16, v107
	v_fma_f16 v18, v18, v4, -v21
	v_add_f16_e32 v4, v103, v124
	ds_load_2addr_b32 v[105:106], v22 offset0:8 offset1:68
	s_wait_dscnt 0x0
	v_lshrrev_b32_e32 v0, 16, v105
	v_mul_f16_e32 v1, v2, v105
	s_delay_alu instid0(VALU_DEP_2) | instskip(NEXT) | instid1(VALU_DEP_2)
	v_mul_f16_e32 v2, v2, v0
	v_fma_f16 v0, v176, v0, -v1
	v_add_f16_e32 v1, v19, v110
	v_fmac_f16_e32 v19, -0.5, v3
	s_delay_alu instid0(VALU_DEP_4) | instskip(NEXT) | instid1(VALU_DEP_4)
	v_fmac_f16_e64 v2, v176, v105
	v_add_f16_e32 v3, v124, v0
	s_delay_alu instid0(VALU_DEP_4)
	v_add_f16_e32 v113, v1, v127
	v_add_f16_e32 v1, v107, v109
	v_sub_f16_e32 v105, v110, v127
	v_add_f16_e32 v21, v122, v2
	v_fmac_f16_e32 v103, -0.5, v3
	v_sub_f16_e32 v123, v122, v2
	v_add_f16_e32 v115, v1, v125
	v_add_f16_e32 v1, v109, v125
	;; [unrolled: 1-line block ×3, first 2 shown]
	v_fmac_f16_e32 v102, -0.5, v21
	v_sub_f16_e32 v124, v124, v0
	v_add_f16_e32 v126, v4, v0
	v_fmamk_f16 v0, v123, 0x3aee, v103
	v_fma_f16 v107, -0.5, v1, v107
	v_fmac_f16_e32 v103, 0xbaee, v123
	v_add_f16_e32 v125, v3, v2
	v_fma_f16 v135, 0x3aee, v117, v19
	v_mul_f16_e32 v127, 0xbaee, v0
	v_mul_f16_e64 v128, 0.5, v0
	v_fmamk_f16 v0, v124, 0xbaee, v102
	v_fma_f16 v133, 0xbaee, v105, v107
	v_fmac_f16_e32 v107, 0x3aee, v105
	v_fmac_f16_e32 v102, 0x3aee, v124
	v_mul_f16_e32 v105, 0xbaee, v103
	v_mul_f16_e32 v103, -0.5, v103
	v_fmac_f16_e32 v19, 0xbaee, v117
	v_fmac_f16_e32 v127, 0.5, v0
	v_fmac_f16_e64 v128, 0x3aee, v0
	v_fmac_f16_e32 v105, -0.5, v102
	v_fmac_f16_e32 v103, 0x3aee, v102
	v_add_f16_e32 v0, v115, v125
	v_add_f16_e32 v2, v113, v126
	v_sub_f16_e32 v102, v115, v125
	v_sub_f16_e32 v113, v113, v126
	v_add_f16_e32 v115, v107, v105
	v_add_f16_e32 v117, v19, v103
	v_pack_b32_f16 v129, v0, v2
	v_add_f16_e64 v0, v133, v127
	v_add_f16_e64 v1, v135, v128
	v_pack_b32_f16 v102, v102, v113
	v_pack_b32_f16 v115, v115, v117
	v_add_nc_u32_e32 v4, 0x200, v111
	v_add_nc_u32_e32 v21, 0x1e00, v111
	v_pack_b32_f16 v138, v0, v1
	ds_load_2addr_b32 v[109:110], v111 offset0:120 offset1:180
	ds_load_2addr_b32 v[121:122], v22 offset0:128 offset1:188
	ds_load_2addr_b32 v[0:1], v4 offset0:112 offset1:172
	ds_load_2addr_b32 v[2:3], v21 offset0:120 offset1:180
	global_wb scope:SCOPE_SE
	s_wait_dscnt 0x0
	s_barrier_signal -1
	s_barrier_wait -1
	global_inv scope:SCOPE_SE
	ds_store_2addr_b32 v195, v115, v102 offset0:20 offset1:30
	v_sub_f16_e64 v102, v133, v127
	v_sub_f16_e32 v105, v107, v105
	v_sub_f16_e64 v107, v135, v128
	v_sub_f16_e32 v19, v19, v103
	v_lshrrev_b32_e32 v103, 16, v175
	v_add_f16_e32 v113, v89, v100
	v_add_f16_e32 v115, v94, v104
	v_pack_b32_f16 v102, v102, v107
	v_pack_b32_f16 v19, v105, v19
	v_lshrrev_b32_e32 v105, 16, v108
	ds_store_2addr_b32 v195, v129, v138 offset1:10
	ds_store_2addr_b32 v195, v102, v19 offset0:40 offset1:50
	v_lshrrev_b32_e32 v19, 16, v106
	s_delay_alu instid0(VALU_DEP_1) | instskip(SKIP_1) | instid1(VALU_DEP_2)
	v_mul_f16_e32 v102, v103, v19
	v_mul_f16_e32 v103, v103, v106
	v_fmac_f16_e64 v102, v175, v106
	s_delay_alu instid0(VALU_DEP_2) | instskip(SKIP_3) | instid1(VALU_DEP_3)
	v_fma_f16 v19, v175, v19, -v103
	v_add_f16_e32 v103, v97, v98
	v_add_f16_e32 v106, v108, v97
	v_sub_f16_e32 v97, v97, v98
	v_fmac_f16_e32 v108, -0.5, v103
	v_sub_f16_e32 v103, v101, v99
	s_delay_alu instid0(VALU_DEP_4) | instskip(NEXT) | instid1(VALU_DEP_2)
	v_add_f16_e32 v98, v106, v98
	v_fmamk_f16 v107, v103, 0xbaee, v108
	v_fmac_f16_e32 v108, 0x3aee, v103
	v_add_f16_e32 v103, v100, v102
	v_sub_f16_e32 v100, v100, v102
	s_delay_alu instid0(VALU_DEP_2) | instskip(SKIP_1) | instid1(VALU_DEP_1)
	v_fmac_f16_e32 v89, -0.5, v103
	v_add_f16_e32 v103, v104, v19
	v_fmac_f16_e32 v94, -0.5, v103
	s_delay_alu instid0(VALU_DEP_1) | instskip(SKIP_3) | instid1(VALU_DEP_2)
	v_fmamk_f16 v103, v100, 0x3aee, v94
	v_fmac_f16_e32 v94, 0xbaee, v100
	v_sub_f16_e32 v100, v104, v19
	v_add_f16_e32 v19, v115, v19
	v_fmamk_f16 v104, v100, 0xbaee, v89
	v_fmac_f16_e32 v89, 0x3aee, v100
	v_mul_f16_e32 v100, 0xbaee, v94
	v_mul_f16_e32 v94, -0.5, v94
	s_delay_alu instid0(VALU_DEP_2) | instskip(NEXT) | instid1(VALU_DEP_2)
	v_fmac_f16_e32 v100, -0.5, v89
	v_fmac_f16_e32 v94, 0x3aee, v89
	s_delay_alu instid0(VALU_DEP_2) | instskip(SKIP_3) | instid1(VALU_DEP_2)
	v_add_f16_e32 v117, v108, v100
	v_sub_f16_e32 v100, v108, v100
	v_add_f16_e32 v108, v101, v99
	v_add_f16_e32 v101, v105, v101
	v_fmac_f16_e32 v105, -0.5, v108
	s_delay_alu instid0(VALU_DEP_2) | instskip(SKIP_3) | instid1(VALU_DEP_4)
	v_add_f16_e32 v99, v101, v99
	v_add_f16_e32 v101, v113, v102
	v_mul_f16_e32 v102, 0xbaee, v103
	v_mul_f16_e32 v103, 0.5, v103
	v_add_f16_e32 v106, v99, v19
	s_delay_alu instid0(VALU_DEP_4) | instskip(NEXT) | instid1(VALU_DEP_4)
	v_sub_f16_e32 v89, v98, v101
	v_fmac_f16_e32 v102, 0.5, v104
	s_delay_alu instid0(VALU_DEP_4) | instskip(SKIP_4) | instid1(VALU_DEP_4)
	v_fmac_f16_e32 v103, 0x3aee, v104
	v_add_f16_e32 v104, v98, v101
	v_sub_f16_e32 v19, v99, v19
	v_add_f16_e32 v99, v92, v96
	v_add_f16_e32 v108, v107, v102
	v_pack_b32_f16 v104, v104, v106
	v_fmamk_f16 v106, v97, 0x3aee, v105
	v_fmac_f16_e32 v105, 0xbaee, v97
	v_pack_b32_f16 v19, v89, v19
	v_fma_f16 v99, -0.5, v99, v109
	s_delay_alu instid0(VALU_DEP_4) | instskip(NEXT) | instid1(VALU_DEP_4)
	v_sub_f16_e32 v89, v106, v103
	v_add_f16_e32 v97, v105, v94
	v_sub_f16_e32 v94, v105, v94
	v_add_f16_e32 v113, v106, v103
	s_delay_alu instid0(VALU_DEP_3) | instskip(NEXT) | instid1(VALU_DEP_2)
	v_pack_b32_f16 v97, v117, v97
	v_pack_b32_f16 v108, v108, v113
	ds_store_2addr_b32 v192, v97, v19 offset0:20 offset1:30
	v_sub_f16_e32 v19, v107, v102
	v_add_f16_e32 v97, v93, v95
	ds_store_2addr_b32 v192, v104, v108 offset1:10
	v_pack_b32_f16 v19, v19, v89
	v_pack_b32_f16 v89, v100, v94
	v_lshrrev_b32_e32 v94, 16, v187
	v_add_f16_e32 v100, v84, v90
	ds_store_2addr_b32 v192, v19, v89 offset0:40 offset1:50
	v_lshrrev_b32_e32 v19, 16, v121
	v_mul_f16_e32 v89, v94, v121
	s_delay_alu instid0(VALU_DEP_2) | instskip(NEXT) | instid1(VALU_DEP_2)
	v_mul_f16_e32 v94, v94, v19
	v_fma_f16 v19, v187, v19, -v89
	v_lshrrev_b32_e32 v89, 16, v109
	s_delay_alu instid0(VALU_DEP_3) | instskip(NEXT) | instid1(VALU_DEP_2)
	v_fmac_f16_e64 v94, v187, v121
	v_add_f16_e32 v98, v89, v93
	v_fmac_f16_e32 v89, -0.5, v97
	v_add_f16_e32 v97, v109, v92
	v_sub_f16_e32 v92, v92, v96
	v_sub_f16_e32 v93, v93, v95
	v_add_f16_e32 v95, v98, v95
	v_add_f16_e32 v98, v83, v91
	;; [unrolled: 1-line block ×4, first 2 shown]
	v_sub_f16_e32 v91, v91, v94
	v_fmamk_f16 v102, v92, 0x3aee, v89
	v_add_f16_e32 v94, v98, v94
	v_fmac_f16_e32 v89, 0xbaee, v92
	v_fmac_f16_e32 v83, -0.5, v96
	v_add_f16_e32 v96, v90, v19
	v_sub_f16_e32 v90, v90, v19
	v_add_f16_e32 v19, v100, v19
	s_delay_alu instid0(VALU_DEP_3) | instskip(NEXT) | instid1(VALU_DEP_3)
	v_fmac_f16_e32 v84, -0.5, v96
	v_fmamk_f16 v100, v90, 0xbaee, v83
	s_delay_alu instid0(VALU_DEP_3)
	v_add_f16_e32 v101, v95, v19
	v_fmac_f16_e32 v83, 0x3aee, v90
	v_sub_f16_e32 v19, v95, v19
	v_fmamk_f16 v96, v91, 0x3aee, v84
	v_fmac_f16_e32 v84, 0xbaee, v91
	v_add_f16_e32 v95, v87, v85
	s_delay_alu instid0(VALU_DEP_3) | instskip(SKIP_1) | instid1(VALU_DEP_4)
	v_mul_f16_e32 v98, 0xbaee, v96
	v_mul_f16_e32 v96, 0.5, v96
	v_mul_f16_e32 v90, 0xbaee, v84
	v_mul_f16_e32 v84, -0.5, v84
	s_delay_alu instid0(VALU_DEP_4) | instskip(NEXT) | instid1(VALU_DEP_4)
	v_fmac_f16_e32 v98, 0.5, v100
	v_fmac_f16_e32 v96, 0x3aee, v100
	v_add_f16_e32 v100, v97, v94
	v_fmac_f16_e32 v90, -0.5, v83
	v_fmac_f16_e32 v84, 0x3aee, v83
	v_sub_f16_e32 v83, v97, v94
	v_add_f16_e32 v104, v102, v96
	v_pack_b32_f16 v100, v100, v101
	v_fmamk_f16 v101, v93, 0xbaee, v99
	v_fmac_f16_e32 v99, 0x3aee, v93
	v_add_f16_e32 v92, v89, v84
	v_pack_b32_f16 v19, v83, v19
	v_sub_f16_e32 v84, v89, v84
	v_lshrrev_b32_e32 v89, 16, v110
	v_add_f16_e32 v91, v99, v90
	v_sub_f16_e32 v83, v99, v90
	v_sub_f16_e32 v90, v102, v96
	v_add_f16_e32 v93, v78, v88
	v_add_f16_e32 v103, v101, v98
	v_pack_b32_f16 v91, v91, v92
	v_pack_b32_f16 v83, v83, v84
	v_lshrrev_b32_e32 v84, 16, v185
	v_add_f16_e32 v92, v32, v86
	v_pack_b32_f16 v103, v103, v104
	ds_store_2addr_b32 v190, v91, v19 offset0:20 offset1:30
	v_sub_f16_e32 v19, v101, v98
	ds_store_2addr_b32 v190, v100, v103 offset1:10
	v_pack_b32_f16 v19, v19, v90
	v_add_f16_e32 v90, v110, v79
	ds_store_2addr_b32 v190, v19, v83 offset0:40 offset1:50
	v_lshrrev_b32_e32 v19, 16, v122
	s_delay_alu instid0(VALU_DEP_1) | instskip(SKIP_1) | instid1(VALU_DEP_2)
	v_mul_f16_e32 v83, v84, v19
	v_mul_f16_e32 v84, v84, v122
	v_fmac_f16_e64 v83, v185, v122
	s_delay_alu instid0(VALU_DEP_2) | instskip(SKIP_3) | instid1(VALU_DEP_3)
	v_fma_f16 v19, v185, v19, -v84
	v_add_f16_e32 v84, v79, v80
	v_sub_f16_e32 v79, v79, v80
	v_add_f16_e32 v80, v90, v80
	v_fmac_f16_e32 v110, -0.5, v84
	v_sub_f16_e32 v84, v87, v85
	v_add_f16_e32 v87, v89, v87
	v_fmac_f16_e32 v89, -0.5, v95
	s_delay_alu instid0(VALU_DEP_3) | instskip(SKIP_3) | instid1(VALU_DEP_2)
	v_fmamk_f16 v91, v84, 0xbaee, v110
	v_fmac_f16_e32 v110, 0x3aee, v84
	v_add_f16_e32 v84, v86, v83
	v_add_f16_e32 v85, v87, v85
	v_fmac_f16_e32 v32, -0.5, v84
	v_add_f16_e32 v84, v88, v19
	s_delay_alu instid0(VALU_DEP_1) | instskip(SKIP_2) | instid1(VALU_DEP_2)
	v_fmac_f16_e32 v78, -0.5, v84
	v_sub_f16_e32 v84, v86, v83
	v_add_f16_e32 v83, v92, v83
	v_fmamk_f16 v86, v84, 0x3aee, v78
	v_fmac_f16_e32 v78, 0xbaee, v84
	v_sub_f16_e32 v84, v88, v19
	v_add_f16_e32 v19, v93, v19
	s_delay_alu instid0(VALU_DEP_4) | instskip(SKIP_1) | instid1(VALU_DEP_4)
	v_mul_f16_e32 v87, 0xbaee, v86
	v_mul_f16_e32 v86, 0.5, v86
	v_fmamk_f16 v88, v84, 0xbaee, v32
	v_fmac_f16_e32 v32, 0x3aee, v84
	v_mul_f16_e32 v84, 0xbaee, v78
	v_add_f16_e32 v90, v85, v19
	v_mul_f16_e32 v78, -0.5, v78
	v_fmac_f16_e32 v87, 0.5, v88
	v_fmac_f16_e32 v86, 0x3aee, v88
	v_add_f16_e32 v88, v80, v83
	v_fmac_f16_e32 v84, -0.5, v32
	v_fmac_f16_e32 v78, 0x3aee, v32
	v_sub_f16_e32 v32, v80, v83
	v_sub_f16_e32 v19, v85, v19
	v_pack_b32_f16 v88, v88, v90
	v_fmamk_f16 v90, v79, 0x3aee, v89
	v_fmac_f16_e32 v89, 0xbaee, v79
	v_add_f16_e32 v94, v110, v84
	v_pack_b32_f16 v19, v32, v19
	v_sub_f16_e32 v84, v110, v84
	v_sub_f16_e32 v32, v90, v86
	v_add_f16_e32 v79, v89, v78
	v_sub_f16_e32 v78, v89, v78
	v_add_f16_e32 v80, v35, v82
	v_add_f16_e32 v83, v31, v33
	;; [unrolled: 1-line block ×3, first 2 shown]
	v_pack_b32_f16 v79, v94, v79
	v_add_f16_e32 v93, v90, v86
	ds_store_2addr_b32 v196, v79, v19 offset0:20 offset1:30
	v_sub_f16_e32 v19, v91, v87
	v_pack_b32_f16 v92, v92, v93
	s_delay_alu instid0(VALU_DEP_2)
	v_pack_b32_f16 v19, v19, v32
	v_pack_b32_f16 v32, v84, v78
	v_lshrrev_b32_e32 v78, 16, v183
	ds_store_2addr_b32 v196, v88, v92 offset1:10
	ds_store_2addr_b32 v196, v19, v32 offset0:40 offset1:50
	v_lshrrev_b32_e32 v19, 16, v2
	v_mul_f16_e32 v32, v78, v2
	s_delay_alu instid0(VALU_DEP_2) | instskip(NEXT) | instid1(VALU_DEP_2)
	v_mul_f16_e32 v78, v78, v19
	v_fma_f16 v19, v183, v19, -v32
	v_add_f16_e32 v32, v77, v81
	s_delay_alu instid0(VALU_DEP_3) | instskip(SKIP_1) | instid1(VALU_DEP_1)
	v_fmac_f16_e64 v78, v183, v2
	v_lshrrev_b32_e32 v2, 16, v0
	v_add_f16_e32 v79, v2, v77
	s_delay_alu instid0(VALU_DEP_4)
	v_fmac_f16_e32 v2, -0.5, v32
	v_add_f16_e32 v32, v0, v35
	v_sub_f16_e32 v77, v77, v81
	v_sub_f16_e32 v35, v35, v82
	v_add_f16_e32 v79, v79, v81
	v_add_f16_e32 v81, v34, v78
	;; [unrolled: 1-line block ×4, first 2 shown]
	v_sub_f16_e32 v34, v34, v78
	v_fma_f16 v0, -0.5, v80, v0
	v_fmac_f16_e32 v29, -0.5, v81
	v_add_f16_e32 v81, v33, v19
	v_sub_f16_e32 v33, v33, v19
	v_add_f16_e32 v78, v82, v78
	v_add_f16_e32 v19, v83, v19
	v_fmamk_f16 v80, v77, 0xbaee, v0
	v_fmac_f16_e32 v31, -0.5, v81
	v_fmamk_f16 v83, v33, 0xbaee, v29
	v_fmac_f16_e32 v29, 0x3aee, v33
	v_add_f16_e32 v84, v79, v19
	v_fmac_f16_e32 v0, 0x3aee, v77
	v_fmamk_f16 v81, v34, 0x3aee, v31
	v_fmac_f16_e32 v31, 0xbaee, v34
	v_sub_f16_e32 v19, v79, v19
	s_delay_alu instid0(VALU_DEP_3) | instskip(SKIP_1) | instid1(VALU_DEP_4)
	v_mul_f16_e32 v82, 0xbaee, v81
	v_mul_f16_e32 v81, 0.5, v81
	v_mul_f16_e32 v33, 0xbaee, v31
	v_mul_f16_e32 v31, -0.5, v31
	s_delay_alu instid0(VALU_DEP_4) | instskip(NEXT) | instid1(VALU_DEP_4)
	v_fmac_f16_e32 v82, 0.5, v83
	v_fmac_f16_e32 v81, 0x3aee, v83
	v_add_f16_e32 v83, v32, v78
	v_fmac_f16_e32 v33, -0.5, v29
	v_fmac_f16_e32 v31, 0x3aee, v29
	v_sub_f16_e32 v29, v32, v78
	v_add_f16_e32 v85, v80, v82
	v_pack_b32_f16 v83, v83, v84
	v_fmamk_f16 v84, v35, 0x3aee, v2
	v_fmac_f16_e32 v2, 0xbaee, v35
	v_add_f16_e32 v32, v0, v33
	v_pack_b32_f16 v19, v29, v19
	v_sub_f16_e32 v0, v0, v33
	v_sub_f16_e32 v29, v84, v81
	v_add_f16_e32 v34, v2, v31
	v_sub_f16_e32 v2, v2, v31
	v_add_f16_e32 v33, v7, v18
	v_add_f16_e32 v86, v84, v81
	s_delay_alu instid0(VALU_DEP_4) | instskip(NEXT) | instid1(VALU_DEP_4)
	v_pack_b32_f16 v32, v32, v34
	v_pack_b32_f16 v0, v0, v2
	s_delay_alu instid0(VALU_DEP_3)
	v_pack_b32_f16 v85, v85, v86
	ds_store_2addr_b32 v202, v32, v19 offset0:20 offset1:30
	v_sub_f16_e32 v19, v80, v82
	v_add_f16_e32 v32, v6, v30
	ds_store_2addr_b32 v202, v83, v85 offset1:10
	v_pack_b32_f16 v19, v19, v29
	v_add_f16_e32 v29, v1, v20
	ds_store_2addr_b32 v202, v19, v0 offset0:40 offset1:50
	v_lshrrev_b32_e32 v0, 16, v3
	v_lshrrev_b32_e32 v19, 16, v182
	s_delay_alu instid0(VALU_DEP_1) | instskip(SKIP_1) | instid1(VALU_DEP_2)
	v_mul_f16_e32 v2, v19, v0
	v_mul_f16_e32 v19, v19, v3
	v_fmac_f16_e64 v2, v182, v3
	v_add_f16_e32 v3, v20, v23
	s_delay_alu instid0(VALU_DEP_3) | instskip(SKIP_1) | instid1(VALU_DEP_3)
	v_fma_f16 v0, v182, v0, -v19
	v_lshrrev_b32_e32 v19, 16, v1
	v_fmac_f16_e32 v1, -0.5, v3
	v_sub_f16_e32 v3, v17, v16
	s_delay_alu instid0(VALU_DEP_1) | instskip(SKIP_2) | instid1(VALU_DEP_1)
	v_fmamk_f16 v31, v3, 0xbaee, v1
	v_fmac_f16_e32 v1, 0x3aee, v3
	v_add_f16_e32 v3, v30, v2
	v_fmac_f16_e32 v6, -0.5, v3
	v_add_f16_e32 v3, v18, v0
	s_delay_alu instid0(VALU_DEP_1) | instskip(SKIP_2) | instid1(VALU_DEP_2)
	v_fmac_f16_e32 v7, -0.5, v3
	v_sub_f16_e32 v3, v30, v2
	v_add_f16_e32 v2, v32, v2
	v_fmamk_f16 v30, v3, 0x3aee, v7
	v_fmac_f16_e32 v7, 0xbaee, v3
	v_sub_f16_e32 v3, v18, v0
	v_add_f16_e32 v0, v33, v0
	s_delay_alu instid0(VALU_DEP_2) | instskip(SKIP_2) | instid1(VALU_DEP_1)
	v_fmamk_f16 v18, v3, 0xbaee, v6
	v_fmac_f16_e32 v6, 0x3aee, v3
	v_mul_f16_e32 v3, 0xbaee, v7
	v_fmac_f16_e32 v3, -0.5, v6
	s_delay_alu instid0(VALU_DEP_1) | instskip(SKIP_3) | instid1(VALU_DEP_2)
	v_add_f16_e32 v34, v1, v3
	v_sub_f16_e32 v1, v1, v3
	v_add_f16_e32 v3, v17, v16
	v_add_f16_e32 v17, v19, v17
	v_fmac_f16_e32 v19, -0.5, v3
	v_sub_f16_e32 v3, v20, v23
	v_add_f16_e32 v20, v29, v23
	s_delay_alu instid0(VALU_DEP_4) | instskip(SKIP_2) | instid1(VALU_DEP_3)
	v_add_f16_e32 v16, v17, v16
	v_mul_f16_e32 v17, 0xbaee, v30
	v_mul_f16_e32 v23, 0.5, v30
	v_add_f16_e32 v29, v16, v0
	s_delay_alu instid0(VALU_DEP_3) | instskip(NEXT) | instid1(VALU_DEP_3)
	v_fmac_f16_e32 v17, 0.5, v18
	v_fmac_f16_e32 v23, 0x3aee, v18
	v_add_f16_e32 v18, v20, v2
	v_sub_f16_e32 v2, v20, v2
	v_sub_f16_e32 v0, v16, v0
	v_add_f16_e32 v30, v31, v17
	s_delay_alu instid0(VALU_DEP_4) | instskip(SKIP_4) | instid1(VALU_DEP_4)
	v_pack_b32_f16 v18, v18, v29
	v_fmamk_f16 v29, v3, 0x3aee, v19
	v_fmac_f16_e32 v19, 0xbaee, v3
	v_mul_f16_e32 v3, -0.5, v7
	v_pack_b32_f16 v0, v2, v0
	v_add_f16_e32 v32, v29, v23
	v_sub_f16_e32 v2, v29, v23
	s_delay_alu instid0(VALU_DEP_4) | instskip(NEXT) | instid1(VALU_DEP_3)
	v_fmac_f16_e32 v3, 0x3aee, v6
	v_pack_b32_f16 v30, v30, v32
	s_delay_alu instid0(VALU_DEP_2)
	v_add_f16_e32 v6, v19, v3
	v_sub_f16_e32 v3, v19, v3
	ds_store_2addr_b32 v200, v18, v30 offset1:10
	v_pack_b32_f16 v6, v34, v6
	v_pack_b32_f16 v1, v1, v3
	ds_store_2addr_b32 v200, v6, v0 offset0:20 offset1:30
	v_sub_f16_e32 v0, v31, v17
	s_delay_alu instid0(VALU_DEP_1)
	v_pack_b32_f16 v0, v0, v2
	ds_store_2addr_b32 v200, v0, v1 offset0:40 offset1:50
	global_wb scope:SCOPE_SE
	s_wait_dscnt 0x0
	s_barrier_signal -1
	s_barrier_wait -1
	global_inv scope:SCOPE_SE
	ds_load_2addr_b32 v[0:1], v74 offset0:104 offset1:164
	ds_load_2addr_b32 v[88:89], v72 offset0:144 offset1:204
	s_wait_dscnt 0x1
	v_lshrrev_b32_e32 v2, 16, v0
	v_lshrrev_b32_e32 v3, 16, v1
	v_mul_f16_e64 v6, v210, v0
	v_mul_f16_e64 v7, v210, v1
	s_delay_alu instid0(VALU_DEP_4) | instskip(NEXT) | instid1(VALU_DEP_4)
	v_mul_f16_e64 v17, v210, v2
	v_mul_f16_e64 v16, v210, v3
	s_delay_alu instid0(VALU_DEP_4) | instskip(NEXT) | instid1(VALU_DEP_4)
	v_fma_f16 v87, v8, v2, -v6
	v_fma_f16 v77, v8, v3, -v7
	s_delay_alu instid0(VALU_DEP_4) | instskip(NEXT) | instid1(VALU_DEP_4)
	v_fmac_f16_e32 v17, v8, v0
	v_fmac_f16_e32 v16, v8, v1
	ds_load_2addr_b32 v[0:1], v73 offset0:80 offset1:140
	s_wait_dscnt 0x0
	v_lshrrev_b32_e32 v18, 16, v0
	v_lshrrev_b32_e32 v19, 16, v1
	v_mul_f16_e64 v20, v209, v0
	v_mul_f16_e64 v23, v209, v1
	s_delay_alu instid0(VALU_DEP_4) | instskip(NEXT) | instid1(VALU_DEP_4)
	v_mul_f16_e64 v90, v209, v18
	v_mul_f16_e64 v35, v209, v19
	s_delay_alu instid0(VALU_DEP_4) | instskip(NEXT) | instid1(VALU_DEP_4)
	v_fma_f16 v94, v9, v18, -v20
	v_fma_f16 v85, v9, v19, -v23
	s_delay_alu instid0(VALU_DEP_4) | instskip(NEXT) | instid1(VALU_DEP_4)
	v_fmac_f16_e32 v90, v9, v0
	v_fmac_f16_e32 v35, v9, v1
	;; [unrolled: 15-line block ×3, first 2 shown]
	ds_load_2addr_b32 v[0:1], v75 offset0:160 offset1:220
	v_add_f16_e32 v98, v77, v97
	v_add_f16_e32 v99, v16, v92
	s_wait_dscnt 0x0
	v_lshrrev_b32_e32 v33, 16, v0
	v_lshrrev_b32_e32 v34, 16, v1
	s_delay_alu instid0(VALU_DEP_2) | instskip(NEXT) | instid1(VALU_DEP_2)
	v_mul_f16_e64 v93, v207, v33
	v_mul_f16_e64 v82, v207, v34
	s_delay_alu instid0(VALU_DEP_2) | instskip(NEXT) | instid1(VALU_DEP_2)
	v_fmac_f16_e32 v93, v11, v0
	v_fmac_f16_e32 v82, v11, v1
	v_mul_f16_e64 v0, v207, v0
	v_mul_f16_e64 v1, v207, v1
	s_delay_alu instid0(VALU_DEP_2) | instskip(NEXT) | instid1(VALU_DEP_2)
	v_fma_f16 v96, v11, v33, -v0
	v_fma_f16 v86, v11, v34, -v1
	ds_load_2addr_b32 v[0:1], v5 offset0:96 offset1:156
	s_wait_dscnt 0x0
	v_lshrrev_b32_e32 v2, 16, v0
	v_mul_f16_e64 v3, v144, v0
	s_delay_alu instid0(VALU_DEP_2) | instskip(NEXT) | instid1(VALU_DEP_2)
	v_mul_f16_e64 v18, v144, v2
	v_fma_f16 v20, v48, v2, -v3
	ds_load_2addr_b32 v[2:3], v76 offset0:72 offset1:132
	v_fmac_f16_e32 v18, v48, v0
	v_lshrrev_b32_e32 v0, 16, v1
	s_wait_dscnt 0x0
	v_lshrrev_b32_e32 v6, 16, v2
	v_mul_f16_e64 v7, v131, v2
	s_delay_alu instid0(VALU_DEP_2) | instskip(NEXT) | instid1(VALU_DEP_2)
	v_mul_f16_e64 v78, v131, v6
	v_fma_f16 v79, v49, v6, -v7
	ds_load_2addr_b32 v[6:7], v71 offset0:176 offset1:236
	v_fmac_f16_e32 v78, v49, v2
	v_mul_f16_e64 v2, v150, v1
	s_delay_alu instid0(VALU_DEP_1) | instskip(SKIP_3) | instid1(VALU_DEP_2)
	v_fma_f16 v30, v44, v0, -v2
	s_wait_dscnt 0x0
	v_lshrrev_b32_e32 v8, 16, v6
	v_mul_f16_e64 v9, v132, v6
	v_mul_f16_e64 v81, v132, v8
	s_delay_alu instid0(VALU_DEP_2) | instskip(SKIP_3) | instid1(VALU_DEP_1)
	v_fma_f16 v80, v50, v8, -v9
	ds_load_2addr_b32 v[8:9], v72 offset0:24 offset1:84
	v_fmac_f16_e32 v81, v50, v6
	v_mul_f16_e64 v6, v150, v0
	v_fmac_f16_e32 v6, v44, v1
	v_lshrrev_b32_e32 v1, 16, v3
	s_delay_alu instid0(VALU_DEP_1) | instskip(SKIP_3) | instid1(VALU_DEP_3)
	v_mul_f16_e64 v33, v148, v1
	s_wait_dscnt 0x0
	v_lshrrev_b32_e32 v10, 16, v8
	v_mul_f16_e64 v11, v130, v8
	v_fmac_f16_e32 v33, v45, v3
	s_delay_alu instid0(VALU_DEP_3) | instskip(NEXT) | instid1(VALU_DEP_3)
	v_mul_f16_e64 v84, v130, v10
	v_fma_f16 v83, v51, v10, -v11
	v_mul_f16_e64 v10, v145, v7
	v_mul_f16_e64 v11, v141, v9
	s_delay_alu instid0(VALU_DEP_4)
	v_fmac_f16_e32 v84, v51, v8
	v_mul_f16_e64 v8, v148, v3
	v_lshrrev_b32_e32 v3, 16, v7
	ds_load_2addr_b32 v[50:51], v75 offset0:40 offset1:100
	v_fma_f16 v49, v45, v1, -v8
	v_mul_f16_e64 v34, v145, v3
	s_delay_alu instid0(VALU_DEP_1) | instskip(SKIP_2) | instid1(VALU_DEP_2)
	v_fmac_f16_e32 v34, v46, v7
	v_lshrrev_b32_e32 v7, 16, v9
	v_fma_f16 v46, v46, v3, -v10
	v_mul_f16_e64 v48, v141, v7
	s_delay_alu instid0(VALU_DEP_1)
	v_fmac_f16_e32 v48, v47, v9
	v_fma_f16 v47, v47, v7, -v11
	ds_load_2addr_b32 v[7:8], v28 offset0:88 offset1:148
	ds_load_2addr_b32 v[9:10], v76 offset0:192 offset1:252
	s_wait_dscnt 0x1
	v_lshrrev_b32_e32 v0, 16, v7
	v_mul_f16_e64 v2, v170, v7
	s_wait_dscnt 0x0
	v_lshrrev_b32_e32 v11, 16, v10
	v_mul_f16_e32 v19, v119, v10
	v_mul_f16_e64 v1, v170, v0
	v_fma_f16 v3, v40, v0, -v2
	v_lshrrev_b32_e32 v0, 16, v9
	v_mul_f16_e64 v2, v158, v9
	s_delay_alu instid0(VALU_DEP_4) | instskip(SKIP_1) | instid1(VALU_DEP_4)
	v_fmac_f16_e32 v1, v40, v7
	v_lshrrev_b32_e32 v40, 16, v51
	v_mul_f16_e64 v23, v158, v0
	s_delay_alu instid0(VALU_DEP_4)
	v_fma_f16 v31, v41, v0, -v2
	v_lshrrev_b32_e32 v0, 16, v50
	v_mul_f16_e64 v2, v160, v50
	v_mul_f16_e32 v7, v119, v11
	v_fmac_f16_e32 v23, v41, v9
	v_mul_f16_e32 v9, v120, v8
	v_mul_f16_e64 v29, v160, v0
	v_fma_f16 v32, v42, v0, -v2
	v_lshrrev_b32_e32 v0, 16, v88
	v_mul_f16_e64 v2, v155, v88
	v_mul_f16_e32 v41, v118, v51
	v_fmac_f16_e32 v7, v25, v10
	v_fma_f16 v11, v25, v11, -v19
	v_mul_f16_e64 v44, v155, v0
	v_fma_f16 v45, v43, v0, -v2
	v_lshrrev_b32_e32 v2, 16, v8
	v_fmac_f16_e32 v29, v42, v50
	v_lshrrev_b32_e32 v42, 16, v89
	v_fmac_f16_e32 v44, v43, v88
	v_mul_f16_e32 v43, v116, v89
	v_mul_f16_e32 v0, v120, v2
	v_fma_f16 v2, v24, v2, -v9
	v_fma_f16 v9, v26, v40, -v41
	v_mul_f16_e32 v10, v116, v42
	v_fma_f16 v19, v27, v42, -v43
	v_fmac_f16_e32 v0, v24, v8
	v_mul_f16_e32 v8, v118, v40
	v_add_f16_e32 v88, v90, v93
	v_fmac_f16_e32 v10, v27, v89
	s_delay_alu instid0(VALU_DEP_3)
	v_fmac_f16_e32 v8, v26, v51
	ds_load_2addr_b32 v[25:26], v22 offset0:8 offset1:68
	v_sub_f16_e32 v51, v85, v86
	s_wait_dscnt 0x0
	v_lshrrev_b32_e32 v27, 16, v25
	v_lshrrev_b32_e32 v40, 16, v26
	v_mul_f16_e64 v41, v204, v25
	v_mul_f16_e64 v42, v204, v26
	s_delay_alu instid0(VALU_DEP_4) | instskip(NEXT) | instid1(VALU_DEP_4)
	v_mul_f16_e64 v43, v204, v27
	v_mul_f16_e64 v24, v204, v40
	s_delay_alu instid0(VALU_DEP_4) | instskip(SKIP_1) | instid1(VALU_DEP_4)
	v_fma_f16 v50, v203, v27, -v41
	v_add_f16_e32 v27, v35, v82
	v_fmac_f16_e64 v43, v203, v25
	v_fma_f16 v25, v203, v40, -v42
	ds_load_2addr_b32 v[41:42], v111 offset1:60
	v_fmac_f16_e64 v24, v203, v26
	v_sub_f16_e32 v105, v91, v43
	s_wait_dscnt 0x0
	v_lshrrev_b32_e32 v26, 16, v42
	v_add_f16_e32 v40, v42, v35
	v_fmac_f16_e32 v42, -0.5, v27
	v_fma_f16 v100, -0.5, v88, v41
	v_lshrrev_b32_e32 v103, 16, v41
	v_add_f16_e32 v41, v41, v90
	v_sub_f16_e32 v35, v35, v82
	v_fmamk_f16 v27, v51, 0xbaee, v42
	v_fmac_f16_e32 v42, 0x3aee, v51
	v_add_f16_e32 v51, v97, v25
	v_add_f16_e32 v104, v41, v93
	;; [unrolled: 1-line block ×3, first 2 shown]
	v_sub_f16_e32 v93, v90, v93
	s_delay_alu instid0(VALU_DEP_4) | instskip(SKIP_1) | instid1(VALU_DEP_1)
	v_fmac_f16_e32 v77, -0.5, v51
	v_add_f16_e32 v51, v92, v24
	v_fmac_f16_e32 v16, -0.5, v51
	v_sub_f16_e32 v51, v92, v24
	v_add_f16_e32 v24, v99, v24
	s_delay_alu instid0(VALU_DEP_2) | instskip(SKIP_3) | instid1(VALU_DEP_2)
	v_fmamk_f16 v92, v51, 0x3aee, v77
	v_fmac_f16_e32 v77, 0xbaee, v51
	v_sub_f16_e32 v51, v97, v25
	v_add_f16_e32 v25, v98, v25
	v_fmamk_f16 v97, v51, 0xbaee, v16
	v_fmac_f16_e32 v16, 0x3aee, v51
	v_mul_f16_e32 v51, 0xbaee, v77
	s_delay_alu instid0(VALU_DEP_1) | instskip(NEXT) | instid1(VALU_DEP_1)
	v_fmac_f16_e32 v51, -0.5, v16
	v_add_f16_e32 v101, v42, v51
	v_sub_f16_e32 v102, v42, v51
	v_add_f16_e32 v42, v94, v96
	v_add_f16_e32 v51, v103, v94
	v_sub_f16_e32 v94, v94, v96
	s_delay_alu instid0(VALU_DEP_3)
	v_fmac_f16_e32 v103, -0.5, v42
	v_add_f16_e32 v42, v87, v95
	v_fmac_f16_e32 v87, -0.5, v41
	v_add_f16_e32 v41, v91, v43
	v_add_f16_e32 v96, v51, v96
	;; [unrolled: 1-line block ×3, first 2 shown]
	v_sub_f16_e32 v95, v95, v50
	v_add_f16_e32 v106, v42, v50
	v_fmac_f16_e32 v17, -0.5, v41
	v_fmamk_f16 v41, v105, 0x3aee, v87
	v_fmac_f16_e32 v87, 0xbaee, v105
	v_add_f16_e32 v43, v51, v43
	v_fmamk_f16 v113, v93, 0x3aee, v103
	v_fmac_f16_e32 v103, 0xbaee, v93
	v_mul_f16_e32 v107, 0xbaee, v41
	v_mul_f16_e32 v108, 0.5, v41
	v_fmamk_f16 v41, v95, 0xbaee, v17
	v_fmac_f16_e32 v17, 0x3aee, v95
	v_mul_f16_e32 v93, 0xbaee, v87
	v_mul_f16_e32 v87, -0.5, v87
	v_add_f16_e32 v42, v96, v106
	v_fmac_f16_e32 v107, 0.5, v41
	v_fmac_f16_e32 v108, 0x3aee, v41
	v_add_f16_e32 v41, v104, v43
	v_fmamk_f16 v110, v94, 0xbaee, v100
	v_fmac_f16_e32 v100, 0x3aee, v94
	v_fmac_f16_e32 v93, -0.5, v17
	v_fmac_f16_e32 v87, 0x3aee, v17
	v_pack_b32_f16 v109, v41, v42
	v_add_f16_e32 v41, v110, v107
	v_add_f16_e32 v42, v113, v108
	v_sub_f16_e32 v17, v104, v43
	v_sub_f16_e32 v43, v96, v106
	v_add_f16_e32 v94, v100, v93
	v_add_f16_e32 v95, v103, v87
	v_pack_b32_f16 v115, v41, v42
	ds_load_2addr_b32 v[41:42], v111 offset0:120 offset1:180
	ds_load_2addr_b32 v[50:51], v22 offset0:128 offset1:188
	;; [unrolled: 1-line block ×4, first 2 shown]
	v_pack_b32_f16 v17, v17, v43
	global_wb scope:SCOPE_SE
	s_wait_dscnt 0x0
	v_pack_b32_f16 v94, v94, v95
	s_barrier_signal -1
	s_barrier_wait -1
	global_inv scope:SCOPE_SE
	ds_store_2addr_b32 v111, v109, v115 offset1:60
	ds_store_2addr_b32 v111, v94, v17 offset0:120 offset1:180
	v_sub_f16_e32 v17, v110, v107
	v_sub_f16_e32 v43, v100, v93
	v_sub_f16_e32 v93, v113, v108
	v_sub_f16_e32 v87, v103, v87
	s_delay_alu instid0(VALU_DEP_2) | instskip(NEXT) | instid1(VALU_DEP_2)
	v_pack_b32_f16 v17, v17, v93
	v_pack_b32_f16 v43, v43, v87
	ds_store_2addr_b32 v4, v17, v43 offset0:112 offset1:172
	v_add_f16_e32 v17, v85, v86
	v_add_f16_e32 v43, v26, v85
	s_delay_alu instid0(VALU_DEP_2) | instskip(SKIP_1) | instid1(VALU_DEP_3)
	v_fmac_f16_e32 v26, -0.5, v17
	v_add_f16_e32 v17, v40, v82
	v_add_f16_e32 v40, v43, v86
	v_mul_f16_e32 v43, 0xbaee, v92
	v_mul_f16_e32 v82, 0.5, v92
	s_delay_alu instid0(VALU_DEP_4) | instskip(NEXT) | instid1(VALU_DEP_4)
	v_add_f16_e32 v85, v17, v24
	v_add_f16_e32 v86, v40, v25
	s_delay_alu instid0(VALU_DEP_4) | instskip(NEXT) | instid1(VALU_DEP_4)
	v_fmac_f16_e32 v43, 0.5, v97
	v_fmac_f16_e32 v82, 0x3aee, v97
	s_delay_alu instid0(VALU_DEP_3)
	v_pack_b32_f16 v85, v85, v86
	v_fmamk_f16 v86, v35, 0x3aee, v26
	v_fmac_f16_e32 v26, 0xbaee, v35
	v_mul_f16_e32 v35, -0.5, v77
	v_add_f16_e32 v87, v27, v43
	v_add_f16_e32 v77, v18, v81
	;; [unrolled: 1-line block ×3, first 2 shown]
	s_delay_alu instid0(VALU_DEP_4)
	v_fmac_f16_e32 v35, 0x3aee, v16
	v_sub_f16_e32 v16, v17, v24
	v_sub_f16_e32 v17, v40, v25
	v_add_f16_e32 v25, v79, v83
	v_sub_f16_e32 v40, v79, v83
	v_add_f16_e32 v24, v26, v35
	v_pack_b32_f16 v87, v87, v92
	v_pack_b32_f16 v16, v16, v17
	v_sub_f16_e32 v17, v86, v82
	s_delay_alu instid0(VALU_DEP_4)
	v_pack_b32_f16 v24, v101, v24
	ds_store_2addr_b32 v74, v85, v87 offset0:104 offset1:164
	ds_store_2addr_b32 v5, v24, v16 offset0:96 offset1:156
	v_sub_f16_e32 v16, v27, v43
	v_sub_f16_e32 v24, v26, v35
	v_add_f16_e32 v27, v78, v84
	v_sub_f16_e32 v35, v78, v84
	s_delay_alu instid0(VALU_DEP_4) | instskip(NEXT) | instid1(VALU_DEP_4)
	v_pack_b32_f16 v16, v16, v17
	v_pack_b32_f16 v17, v102, v24
	v_lshrrev_b32_e32 v24, 16, v194
	v_fma_f16 v27, -0.5, v27, v41
	ds_store_2addr_b32 v28, v16, v17 offset0:88 offset1:148
	v_lshrrev_b32_e32 v16, 16, v50
	v_mul_f16_e32 v17, v24, v50
	s_delay_alu instid0(VALU_DEP_2) | instskip(NEXT) | instid1(VALU_DEP_2)
	v_mul_f16_e32 v24, v24, v16
	v_fma_f16 v16, v194, v16, -v17
	v_lshrrev_b32_e32 v17, 16, v41
	s_delay_alu instid0(VALU_DEP_3) | instskip(NEXT) | instid1(VALU_DEP_3)
	v_fmac_f16_e64 v24, v194, v50
	v_add_f16_e32 v43, v80, v16
	s_delay_alu instid0(VALU_DEP_3)
	v_add_f16_e32 v26, v17, v79
	v_add_f16_e32 v50, v20, v80
	v_fmac_f16_e32 v17, -0.5, v25
	v_add_f16_e32 v25, v41, v78
	v_fmac_f16_e32 v20, -0.5, v43
	v_add_f16_e32 v26, v26, v83
	scratch_load_b32 v83, off, off offset:176 th:TH_LOAD_LU ; 4-byte Folded Reload
	v_add_f16_e32 v43, v81, v24
	v_add_f16_e32 v25, v25, v84
	v_fmamk_f16 v41, v40, 0xbaee, v27
	v_fmac_f16_e32 v27, 0x3aee, v40
	s_delay_alu instid0(VALU_DEP_4) | instskip(SKIP_4) | instid1(VALU_DEP_4)
	v_fmac_f16_e32 v18, -0.5, v43
	v_sub_f16_e32 v43, v81, v24
	v_add_f16_e32 v24, v77, v24
	v_sub_f16_e32 v77, v80, v16
	v_add_f16_e32 v16, v50, v16
	v_fmamk_f16 v50, v43, 0x3aee, v20
	v_fmac_f16_e32 v20, 0xbaee, v43
	s_delay_alu instid0(VALU_DEP_4) | instskip(NEXT) | instid1(VALU_DEP_4)
	v_fmamk_f16 v79, v77, 0xbaee, v18
	v_add_f16_e32 v80, v26, v16
	v_fmac_f16_e32 v18, 0x3aee, v77
	v_mul_f16_e32 v78, 0xbaee, v50
	v_mul_f16_e32 v50, 0.5, v50
	v_sub_f16_e32 v16, v26, v16
	v_sub_f16_e32 v26, v49, v47
	s_delay_alu instid0(VALU_DEP_4) | instskip(NEXT) | instid1(VALU_DEP_4)
	v_fmac_f16_e32 v78, 0.5, v79
	v_fmac_f16_e32 v50, 0x3aee, v79
	v_add_f16_e32 v79, v25, v24
	s_delay_alu instid0(VALU_DEP_3) | instskip(NEXT) | instid1(VALU_DEP_2)
	v_add_f16_e32 v81, v41, v78
	v_pack_b32_f16 v79, v79, v80
	v_fmamk_f16 v80, v35, 0x3aee, v17
	v_fmac_f16_e32 v17, 0xbaee, v35
	v_mul_f16_e32 v35, 0xbaee, v20
	v_mul_f16_e32 v20, -0.5, v20
	s_delay_alu instid0(VALU_DEP_4) | instskip(NEXT) | instid1(VALU_DEP_3)
	v_add_f16_e32 v82, v80, v50
	v_fmac_f16_e32 v35, -0.5, v18
	s_delay_alu instid0(VALU_DEP_3) | instskip(SKIP_1) | instid1(VALU_DEP_4)
	v_fmac_f16_e32 v20, 0x3aee, v18
	v_sub_f16_e32 v18, v25, v24
	v_pack_b32_f16 v81, v81, v82
	s_delay_alu instid0(VALU_DEP_4) | instskip(NEXT) | instid1(VALU_DEP_4)
	v_add_f16_e32 v24, v27, v35
	v_add_f16_e32 v25, v17, v20
	s_delay_alu instid0(VALU_DEP_4) | instskip(SKIP_2) | instid1(VALU_DEP_4)
	v_pack_b32_f16 v16, v18, v16
	v_sub_f16_e32 v17, v17, v20
	v_lshrrev_b32_e32 v20, 16, v42
	v_pack_b32_f16 v24, v24, v25
	v_sub_f16_e32 v25, v80, v50
	s_wait_loadcnt 0x0
	v_add_nc_u32_e32 v18, 0xc00, v83
	v_add_nc_u32_e32 v82, 0xa00, v83
	ds_store_2addr_b32 v18, v24, v16 offset0:72 offset1:132
	v_sub_f16_e32 v16, v41, v78
	v_sub_f16_e32 v24, v27, v35
	v_add_f16_e32 v35, v6, v34
	ds_store_2addr_b32 v82, v79, v81 offset0:80 offset1:140
	v_pack_b32_f16 v16, v16, v25
	v_pack_b32_f16 v17, v24, v17
	v_add_f16_e32 v24, v42, v33
	v_add_f16_e32 v25, v20, v49
	ds_store_2addr_b32 v18, v16, v17 offset0:192 offset1:252
	v_lshrrev_b32_e32 v16, 16, v51
	v_lshrrev_b32_e32 v18, 16, v189
	v_add_f16_e32 v25, v25, v47
	s_delay_alu instid0(VALU_DEP_2) | instskip(SKIP_1) | instid1(VALU_DEP_2)
	v_mul_f16_e32 v17, v18, v16
	v_mul_f16_e32 v18, v18, v51
	v_fmac_f16_e64 v17, v189, v51
	s_delay_alu instid0(VALU_DEP_2) | instskip(SKIP_1) | instid1(VALU_DEP_2)
	v_fma_f16 v16, v189, v16, -v18
	v_add_f16_e32 v18, v33, v48
	v_add_f16_e32 v27, v46, v16
	s_delay_alu instid0(VALU_DEP_2) | instskip(SKIP_1) | instid1(VALU_DEP_1)
	v_fmac_f16_e32 v42, -0.5, v18
	v_add_f16_e32 v18, v49, v47
	v_fmac_f16_e32 v20, -0.5, v18
	v_add_f16_e32 v18, v24, v48
	v_sub_f16_e32 v24, v33, v48
	scratch_load_b32 v48, off, off offset:180 th:TH_LOAD_LU ; 4-byte Folded Reload
	v_add_f16_e32 v33, v30, v46
	v_fmac_f16_e32 v30, -0.5, v27
	v_add_f16_e32 v27, v34, v17
	v_fmamk_f16 v43, v24, 0x3aee, v20
	v_fmac_f16_e32 v20, 0xbaee, v24
	s_delay_alu instid0(VALU_DEP_3) | instskip(SKIP_4) | instid1(VALU_DEP_4)
	v_fmac_f16_e32 v6, -0.5, v27
	v_sub_f16_e32 v27, v34, v17
	v_sub_f16_e32 v34, v46, v16
	v_add_f16_e32 v16, v33, v16
	v_add_f16_e32 v17, v35, v17
	v_fmamk_f16 v33, v27, 0x3aee, v30
	s_delay_alu instid0(VALU_DEP_4) | instskip(NEXT) | instid1(VALU_DEP_4)
	v_fmamk_f16 v40, v34, 0xbaee, v6
	v_add_f16_e32 v41, v25, v16
	v_fmac_f16_e32 v30, 0xbaee, v27
	v_fmac_f16_e32 v6, 0x3aee, v34
	v_mul_f16_e32 v35, 0xbaee, v33
	v_mul_f16_e32 v33, 0.5, v33
	v_sub_f16_e32 v16, v25, v16
	v_mul_f16_e32 v24, 0xbaee, v30
	v_add_f16_e32 v27, v3, v32
	v_fmac_f16_e32 v35, 0.5, v40
	v_fmac_f16_e32 v33, 0x3aee, v40
	v_add_f16_e32 v40, v18, v17
	v_fmac_f16_e32 v24, -0.5, v6
	v_sub_f16_e32 v25, v31, v45
	s_delay_alu instid0(VALU_DEP_4) | instskip(NEXT) | instid1(VALU_DEP_4)
	v_add_f16_e32 v47, v43, v33
	v_pack_b32_f16 v40, v40, v41
	v_fmamk_f16 v41, v26, 0xbaee, v42
	v_fmac_f16_e32 v42, 0x3aee, v26
	v_mul_f16_e32 v26, -0.5, v30
	v_add_f16_e32 v30, v1, v29
	s_delay_alu instid0(VALU_DEP_4) | instskip(NEXT) | instid1(VALU_DEP_3)
	v_add_f16_e32 v46, v41, v35
	v_fmac_f16_e32 v26, 0x3aee, v6
	v_sub_f16_e32 v6, v18, v17
	v_add_f16_e32 v17, v42, v24
	s_delay_alu instid0(VALU_DEP_4) | instskip(NEXT) | instid1(VALU_DEP_4)
	v_pack_b32_f16 v46, v46, v47
	v_add_f16_e32 v18, v20, v26
	s_delay_alu instid0(VALU_DEP_4) | instskip(SKIP_1) | instid1(VALU_DEP_3)
	v_pack_b32_f16 v6, v6, v16
	v_sub_f16_e32 v16, v41, v35
	v_pack_b32_f16 v17, v17, v18
	v_sub_f16_e32 v18, v20, v26
	s_wait_loadcnt 0x0
	v_add_nc_u32_e32 v47, 0x1000, v48
	ds_store_2addr_b32 v47, v40, v46 offset0:56 offset1:116
	scratch_load_b32 v40, off, off offset:184 th:TH_LOAD_LU ; 4-byte Folded Reload
	ds_store_2addr_b32 v47, v17, v6 offset0:176 offset1:236
	v_sub_f16_e32 v6, v42, v24
	v_sub_f16_e32 v17, v43, v33
	v_add_f16_e32 v24, v23, v44
	s_delay_alu instid0(VALU_DEP_3) | instskip(NEXT) | instid1(VALU_DEP_3)
	v_pack_b32_f16 v6, v6, v18
	v_pack_b32_f16 v16, v16, v17
	v_add_nc_u32_e32 v17, 0x1400, v48
	v_add_f16_e32 v18, v31, v45
	v_fma_f16 v24, -0.5, v24, v88
	ds_store_2addr_b32 v17, v16, v6 offset0:40 offset1:100
	v_lshrrev_b32_e32 v17, 16, v186
	v_lshrrev_b32_e32 v6, 16, v90
	s_delay_alu instid0(VALU_DEP_2) | instskip(NEXT) | instid1(VALU_DEP_2)
	v_mul_f16_e32 v16, v17, v90
	v_mul_f16_e32 v17, v17, v6
	s_delay_alu instid0(VALU_DEP_2) | instskip(NEXT) | instid1(VALU_DEP_2)
	v_fma_f16 v6, v186, v6, -v16
	v_fmac_f16_e64 v17, v186, v90
	v_lshrrev_b32_e32 v16, 16, v88
	s_delay_alu instid0(VALU_DEP_3) | instskip(NEXT) | instid1(VALU_DEP_2)
	v_add_f16_e32 v26, v32, v6
	v_add_f16_e32 v20, v16, v31
	v_fmac_f16_e32 v16, -0.5, v18
	v_add_f16_e32 v18, v88, v23
	s_delay_alu instid0(VALU_DEP_4) | instskip(SKIP_4) | instid1(VALU_DEP_4)
	v_fmac_f16_e32 v3, -0.5, v26
	v_add_f16_e32 v26, v29, v17
	v_sub_f16_e32 v23, v23, v44
	v_add_f16_e32 v20, v20, v45
	v_add_f16_e32 v18, v18, v44
	v_fmac_f16_e32 v1, -0.5, v26
	v_sub_f16_e32 v26, v29, v17
	v_sub_f16_e32 v29, v32, v6
	v_add_f16_e32 v6, v27, v6
	v_add_f16_e32 v17, v30, v17
	v_fmamk_f16 v33, v23, 0x3aee, v16
	v_fmamk_f16 v27, v26, 0x3aee, v3
	v_fmac_f16_e32 v3, 0xbaee, v26
	scratch_load_b32 v26, off, off offset:188 th:TH_LOAD_LU ; 4-byte Folded Reload
	v_fmamk_f16 v31, v29, 0xbaee, v1
	v_add_f16_e32 v32, v20, v6
	v_mul_f16_e32 v30, 0xbaee, v27
	v_mul_f16_e32 v27, 0.5, v27
	v_fmac_f16_e32 v16, 0xbaee, v23
	v_fmac_f16_e32 v1, 0x3aee, v29
	v_mul_f16_e32 v23, 0xbaee, v3
	v_fmac_f16_e32 v30, 0.5, v31
	v_fmac_f16_e32 v27, 0x3aee, v31
	v_add_f16_e32 v31, v18, v17
	v_mul_f16_e32 v3, -0.5, v3
	v_fmac_f16_e32 v23, -0.5, v1
	v_sub_f16_e32 v6, v20, v6
	v_add_f16_e32 v35, v33, v27
	v_pack_b32_f16 v31, v31, v32
	v_fmamk_f16 v32, v25, 0xbaee, v24
	v_fmac_f16_e32 v24, 0x3aee, v25
	v_fmac_f16_e32 v3, 0x3aee, v1
	v_sub_f16_e32 v1, v18, v17
	s_delay_alu instid0(VALU_DEP_4) | instskip(NEXT) | instid1(VALU_DEP_4)
	v_add_f16_e32 v34, v32, v30
	v_add_f16_e32 v17, v24, v23
	s_delay_alu instid0(VALU_DEP_4) | instskip(NEXT) | instid1(VALU_DEP_4)
	v_add_f16_e32 v18, v16, v3
	v_pack_b32_f16 v1, v1, v6
	v_sub_f16_e32 v3, v16, v3
	v_lshrrev_b32_e32 v16, 16, v89
	v_pack_b32_f16 v34, v34, v35
	v_pack_b32_f16 v17, v17, v18
	v_sub_f16_e32 v18, v33, v27
	s_wait_loadcnt 0x1
	v_add_nc_u32_e32 v6, 0x1800, v40
	v_add_nc_u32_e32 v35, 0x1400, v40
	ds_store_2addr_b32 v6, v17, v1 offset0:24 offset1:84
	v_sub_f16_e32 v1, v32, v30
	v_sub_f16_e32 v17, v24, v23
	ds_store_2addr_b32 v35, v31, v34 offset0:160 offset1:220
	v_pack_b32_f16 v1, v1, v18
	v_pack_b32_f16 v3, v17, v3
	v_add_f16_e32 v17, v89, v7
	v_add_f16_e32 v18, v16, v11
	ds_store_2addr_b32 v6, v1, v3 offset0:144 offset1:204
	v_lshrrev_b32_e32 v1, 16, v91
	v_lshrrev_b32_e32 v6, 16, v184
	s_delay_alu instid0(VALU_DEP_1) | instskip(SKIP_1) | instid1(VALU_DEP_2)
	v_mul_f16_e32 v3, v6, v1
	v_mul_f16_e32 v6, v6, v91
	v_fmac_f16_e64 v3, v184, v91
	s_delay_alu instid0(VALU_DEP_2) | instskip(SKIP_2) | instid1(VALU_DEP_2)
	v_fma_f16 v1, v184, v1, -v6
	v_add_f16_e32 v6, v7, v10
	v_sub_f16_e32 v7, v7, v10
	v_fmac_f16_e32 v89, -0.5, v6
	v_add_f16_e32 v6, v11, v19
	s_delay_alu instid0(VALU_DEP_1)
	v_fmac_f16_e32 v16, -0.5, v6
	v_add_f16_e32 v6, v17, v10
	v_add_f16_e32 v17, v9, v1
	v_sub_f16_e32 v10, v11, v19
	v_add_f16_e32 v11, v18, v19
	v_add_f16_e32 v18, v2, v9
	;; [unrolled: 1-line block ×3, first 2 shown]
	v_fmac_f16_e32 v2, -0.5, v17
	v_add_f16_e32 v17, v8, v3
	v_sub_f16_e32 v8, v8, v3
	v_sub_f16_e32 v9, v9, v1
	v_add_f16_e32 v3, v19, v3
	v_add_f16_e32 v1, v18, v1
	v_fmac_f16_e32 v0, -0.5, v17
	v_fmamk_f16 v17, v8, 0x3aee, v2
	v_fmac_f16_e32 v2, 0xbaee, v8
	v_fmamk_f16 v23, v7, 0x3aee, v16
	v_add_f16_e32 v20, v11, v1
	v_fmamk_f16 v19, v9, 0xbaee, v0
	v_mul_f16_e32 v18, 0xbaee, v17
	v_mul_f16_e32 v17, 0.5, v17
	v_fmac_f16_e32 v16, 0xbaee, v7
	v_fmac_f16_e32 v0, 0x3aee, v9
	v_mul_f16_e32 v7, 0xbaee, v2
	v_fmac_f16_e32 v18, 0.5, v19
	v_fmac_f16_e32 v17, 0x3aee, v19
	v_add_f16_e32 v19, v6, v3
	v_mul_f16_e32 v2, -0.5, v2
	v_fmac_f16_e32 v7, -0.5, v0
	v_sub_f16_e32 v1, v11, v1
	v_add_f16_e32 v25, v23, v17
	v_pack_b32_f16 v19, v19, v20
	v_fmamk_f16 v20, v10, 0xbaee, v89
	v_fmac_f16_e32 v89, 0x3aee, v10
	v_fmac_f16_e32 v2, 0x3aee, v0
	v_sub_f16_e32 v0, v6, v3
	s_delay_alu instid0(VALU_DEP_4) | instskip(NEXT) | instid1(VALU_DEP_4)
	v_add_f16_e32 v24, v20, v18
	v_add_f16_e32 v3, v89, v7
	s_delay_alu instid0(VALU_DEP_4) | instskip(NEXT) | instid1(VALU_DEP_4)
	v_add_f16_e32 v6, v16, v2
	v_pack_b32_f16 v0, v0, v1
	v_sub_f16_e32 v1, v20, v18
	v_pack_b32_f16 v24, v24, v25
	s_wait_loadcnt 0x0
	v_add_nc_u32_e32 v25, 0x1c00, v26
	v_pack_b32_f16 v3, v3, v6
	v_sub_f16_e32 v2, v16, v2
	v_lshrrev_b32_e32 v6, 16, v12
	ds_store_2addr_b32 v25, v19, v24 offset0:8 offset1:68
	ds_store_2addr_b32 v25, v3, v0 offset0:128 offset1:188
	v_sub_f16_e32 v0, v89, v7
	v_sub_f16_e32 v3, v23, v17
	s_delay_alu instid0(VALU_DEP_2) | instskip(NEXT) | instid1(VALU_DEP_2)
	v_pack_b32_f16 v0, v0, v2
	v_pack_b32_f16 v1, v1, v3
	v_add_nc_u32_e32 v2, 0x1e00, v26
	ds_store_2addr_b32 v2, v1, v0 offset0:120 offset1:180
	global_wb scope:SCOPE_SE
	s_wait_dscnt 0x0
	s_barrier_signal -1
	s_barrier_wait -1
	global_inv scope:SCOPE_SE
	ds_load_2addr_b32 v[0:1], v74 offset0:104 offset1:164
	ds_load_2addr_b32 v[46:47], v72 offset0:144 offset1:204
	s_wait_dscnt 0x1
	v_lshrrev_b32_e32 v2, 16, v0
	v_mul_f16_e32 v3, v6, v0
	s_delay_alu instid0(VALU_DEP_2) | instskip(NEXT) | instid1(VALU_DEP_2)
	v_mul_f16_e32 v48, v6, v2
	v_fma_f16 v49, v12, v2, -v3
	ds_load_2addr_b32 v[2:3], v73 offset0:80 offset1:140
	v_fmac_f16_e32 v48, v12, v0
	v_lshrrev_b32_e32 v0, 16, v1
	s_delay_alu instid0(VALU_DEP_1) | instskip(NEXT) | instid1(VALU_DEP_1)
	v_mul_f16_e64 v26, v240, v0
	v_fmac_f16_e32 v26, v36, v1
	s_wait_dscnt 0x0
	v_lshrrev_b32_e32 v6, 16, v2
	v_mul_f16_e64 v7, v244, v2
	s_delay_alu instid0(VALU_DEP_2) | instskip(NEXT) | instid1(VALU_DEP_2)
	v_mul_f16_e64 v50, v244, v6
	v_fma_f16 v51, v13, v6, -v7
	ds_load_2addr_b32 v[6:7], v71 offset0:56 offset1:116
	v_fmac_f16_e32 v50, v13, v2
	v_mul_f16_e64 v2, v240, v1
	v_lshrrev_b32_e32 v1, 16, v3
	s_delay_alu instid0(VALU_DEP_2) | instskip(NEXT) | instid1(VALU_DEP_2)
	v_fma_f16 v30, v36, v0, -v2
	v_mul_f16_e64 v40, v241, v1
	s_delay_alu instid0(VALU_DEP_1) | instskip(SKIP_3) | instid1(VALU_DEP_2)
	v_fmac_f16_e32 v40, v37, v3
	s_wait_dscnt 0x0
	v_lshrrev_b32_e32 v8, 16, v6
	v_mul_f16_e64 v9, v245, v6
	v_mul_f16_e64 v77, v245, v8
	s_delay_alu instid0(VALU_DEP_2) | instskip(SKIP_4) | instid1(VALU_DEP_2)
	v_fma_f16 v78, v14, v8, -v9
	ds_load_2addr_b32 v[8:9], v75 offset0:160 offset1:220
	v_fmac_f16_e32 v77, v14, v6
	v_mul_f16_e64 v6, v241, v3
	v_lshrrev_b32_e32 v3, 16, v7
	v_fma_f16 v43, v37, v1, -v6
	ds_load_2addr_b32 v[0:1], v5 offset0:96 offset1:156
	v_mul_f16_e64 v41, v242, v3
	s_delay_alu instid0(VALU_DEP_1) | instskip(SKIP_3) | instid1(VALU_DEP_2)
	v_fmac_f16_e32 v41, v38, v7
	s_wait_dscnt 0x1
	v_lshrrev_b32_e32 v10, 16, v8
	v_mul_f16_e64 v11, v246, v8
	v_mul_f16_e64 v79, v246, v10
	s_delay_alu instid0(VALU_DEP_2) | instskip(SKIP_1) | instid1(VALU_DEP_3)
	v_fma_f16 v80, v15, v10, -v11
	v_mul_f16_e64 v10, v243, v9
	v_fmac_f16_e32 v79, v15, v8
	v_mul_f16_e64 v8, v242, v7
	s_wait_dscnt 0x0
	v_lshrrev_b32_e32 v2, 16, v0
	v_lshrrev_b32_e32 v7, 16, v9
	s_delay_alu instid0(VALU_DEP_3) | instskip(SKIP_1) | instid1(VALU_DEP_4)
	v_fma_f16 v38, v38, v3, -v8
	v_mul_f16_e64 v3, v151, v0
	v_mul_f16_e64 v31, v151, v2
	s_delay_alu instid0(VALU_DEP_4) | instskip(NEXT) | instid1(VALU_DEP_3)
	v_mul_f16_e64 v42, v243, v7
	v_fma_f16 v32, v56, v2, -v3
	ds_load_2addr_b32 v[2:3], v76 offset0:72 offset1:132
	v_fmac_f16_e32 v42, v39, v9
	v_fma_f16 v39, v39, v7, -v10
	v_fmac_f16_e32 v31, v56, v0
	v_lshrrev_b32_e32 v0, 16, v1
	s_wait_dscnt 0x0
	v_lshrrev_b32_e32 v5, 16, v2
	v_mul_f16_e64 v6, v152, v2
	s_delay_alu instid0(VALU_DEP_2) | instskip(NEXT) | instid1(VALU_DEP_2)
	v_mul_f16_e64 v29, v152, v5
	v_fma_f16 v37, v57, v5, -v6
	ds_load_2addr_b32 v[5:6], v71 offset0:176 offset1:236
	v_fmac_f16_e32 v29, v57, v2
	v_mul_f16_e64 v2, v134, v1
	v_add_f16_e32 v57, v50, v79
	s_wait_dscnt 0x0
	v_lshrrev_b32_e32 v7, 16, v5
	v_mul_f16_e64 v8, v153, v5
	s_delay_alu instid0(VALU_DEP_2) | instskip(NEXT) | instid1(VALU_DEP_2)
	v_mul_f16_e64 v44, v153, v7
	v_fma_f16 v45, v58, v7, -v8
	ds_load_2addr_b32 v[7:8], v72 offset0:24 offset1:84
	v_fmac_f16_e32 v44, v58, v5
	v_mul_f16_e64 v5, v136, v3
	v_add_f16_e32 v58, v49, v78
	s_wait_dscnt 0x0
	v_lshrrev_b32_e32 v9, 16, v7
	v_mul_f16_e64 v10, v154, v7
	v_mul_f16_e64 v12, v139, v8
	s_delay_alu instid0(VALU_DEP_3) | instskip(NEXT) | instid1(VALU_DEP_3)
	v_mul_f16_e64 v33, v154, v9
	v_fma_f16 v35, v59, v9, -v10
	v_mul_f16_e64 v9, v134, v0
	v_fma_f16 v10, v52, v0, -v2
	s_delay_alu instid0(VALU_DEP_4) | instskip(SKIP_1) | instid1(VALU_DEP_4)
	v_fmac_f16_e32 v33, v59, v7
	v_mul_f16_e64 v7, v137, v6
	v_fmac_f16_e32 v9, v52, v1
	v_lshrrev_b32_e32 v1, 16, v3
	v_add_f16_e32 v59, v48, v77
	s_delay_alu instid0(VALU_DEP_2)
	v_mul_f16_e64 v11, v136, v1
	v_fma_f16 v15, v53, v1, -v5
	ds_load_2addr_b32 v[0:1], v28 offset0:88 offset1:148
	v_fmac_f16_e32 v11, v53, v3
	v_lshrrev_b32_e32 v3, 16, v6
	v_mul_f16_e64 v53, v168, v47
	s_delay_alu instid0(VALU_DEP_2) | instskip(SKIP_1) | instid1(VALU_DEP_2)
	v_mul_f16_e64 v18, v137, v3
	v_fma_f16 v24, v54, v3, -v7
	v_fmac_f16_e32 v18, v54, v6
	v_lshrrev_b32_e32 v6, 16, v8
	s_delay_alu instid0(VALU_DEP_1)
	v_mul_f16_e64 v14, v139, v6
	v_fma_f16 v16, v55, v6, -v12
	ds_load_2addr_b32 v[5:6], v76 offset0:192 offset1:252
	s_wait_dscnt 0x1
	v_lshrrev_b32_e32 v2, 16, v0
	v_mul_f16_e64 v3, v173, v0
	v_fmac_f16_e32 v14, v55, v8
	ds_load_2addr_b32 v[7:8], v75 offset0:40 offset1:100
	v_add_f16_e32 v55, v51, v80
	v_mul_f16_e64 v12, v173, v2
	v_fma_f16 v13, v64, v2, -v3
	s_delay_alu instid0(VALU_DEP_2)
	v_fmac_f16_e32 v12, v64, v0
	v_lshrrev_b32_e32 v0, 16, v1
	s_wait_dscnt 0x1
	v_lshrrev_b32_e32 v2, 16, v5
	v_mul_f16_e64 v3, v174, v5
	v_mul_f16_e64 v36, v163, v6
	s_wait_dscnt 0x0
	v_mul_f16_e64 v52, v165, v8
	v_mul_f16_e64 v17, v174, v2
	v_fma_f16 v19, v65, v2, -v3
	v_lshrrev_b32_e32 v2, 16, v7
	v_mul_f16_e32 v3, v112, v7
	s_delay_alu instid0(VALU_DEP_4) | instskip(NEXT) | instid1(VALU_DEP_3)
	v_fmac_f16_e32 v17, v65, v5
	v_mul_f16_e32 v20, v112, v2
	s_delay_alu instid0(VALU_DEP_3) | instskip(SKIP_2) | instid1(VALU_DEP_4)
	v_fma_f16 v23, v66, v2, -v3
	v_lshrrev_b32_e32 v2, 16, v46
	v_mul_f16_e32 v3, v114, v46
	v_fmac_f16_e32 v20, v66, v7
	v_mul_f16_e64 v7, v162, v1
	s_delay_alu instid0(VALU_DEP_4) | instskip(NEXT) | instid1(VALU_DEP_4)
	v_mul_f16_e32 v25, v114, v2
	v_fma_f16 v27, v67, v2, -v3
	v_mul_f16_e64 v2, v162, v0
	v_sub_f16_e32 v66, v29, v33
	s_delay_alu instid0(VALU_DEP_4) | instskip(SKIP_1) | instid1(VALU_DEP_4)
	v_fmac_f16_e32 v25, v67, v46
	v_lshrrev_b32_e32 v46, 16, v8
	v_fmac_f16_e32 v2, v60, v1
	v_lshrrev_b32_e32 v1, 16, v6
	s_delay_alu instid0(VALU_DEP_3) | instskip(NEXT) | instid1(VALU_DEP_2)
	v_mul_f16_e64 v34, v165, v46
	v_mul_f16_e64 v3, v163, v1
	s_delay_alu instid0(VALU_DEP_2) | instskip(SKIP_1) | instid1(VALU_DEP_3)
	v_fmac_f16_e32 v34, v62, v8
	v_lshrrev_b32_e32 v8, 16, v47
	v_fmac_f16_e32 v3, v61, v6
	v_fma_f16 v6, v60, v0, -v7
	v_fma_f16 v7, v61, v1, -v36
	ds_load_2addr_b32 v[0:1], v22 offset0:8 offset1:68
	v_mul_f16_e64 v5, v168, v8
	v_fma_f16 v36, v62, v46, -v52
	v_lshrrev_b32_e32 v52, 16, v205
	v_fma_f16 v8, v63, v8, -v53
	s_delay_alu instid0(VALU_DEP_4) | instskip(SKIP_3) | instid1(VALU_DEP_2)
	v_fmac_f16_e32 v5, v63, v47
	s_wait_dscnt 0x0
	v_lshrrev_b32_e32 v46, 16, v0
	v_mul_f16_e32 v47, v52, v0
	v_mul_f16_e32 v52, v52, v46
	s_delay_alu instid0(VALU_DEP_2) | instskip(SKIP_1) | instid1(VALU_DEP_3)
	v_fma_f16 v53, v205, v46, -v47
	v_lshrrev_b32_e32 v46, 16, v220
	v_fmac_f16_e64 v52, v205, v0
	v_lshrrev_b32_e32 v0, 16, v1
	s_delay_alu instid0(VALU_DEP_1) | instskip(SKIP_1) | instid1(VALU_DEP_2)
	v_mul_f16_e32 v47, v46, v0
	v_mul_f16_e32 v46, v46, v1
	v_fmac_f16_e64 v47, v220, v1
	s_delay_alu instid0(VALU_DEP_2) | instskip(SKIP_4) | instid1(VALU_DEP_2)
	v_fma_f16 v46, v220, v0, -v46
	ds_load_2addr_b32 v[0:1], v111 offset1:60
	s_wait_dscnt 0x0
	v_lshrrev_b32_e32 v54, 16, v0
	v_lshrrev_b32_e32 v61, 16, v1
	v_add_f16_e32 v56, v54, v51
	v_fmac_f16_e32 v54, -0.5, v55
	v_add_f16_e32 v55, v0, v50
	v_fma_f16 v0, -0.5, v57, v0
	v_sub_f16_e32 v51, v51, v80
	v_sub_f16_e32 v50, v50, v79
	s_delay_alu instid0(VALU_DEP_4) | instskip(NEXT) | instid1(VALU_DEP_3)
	v_add_f16_e32 v55, v55, v79
	v_fmamk_f16 v57, v51, 0xbaee, v0
	v_fmac_f16_e32 v0, 0x3aee, v51
	v_add_f16_e32 v51, v56, v80
	v_add_f16_e32 v56, v78, v53
	s_delay_alu instid0(VALU_DEP_1) | instskip(SKIP_1) | instid1(VALU_DEP_1)
	v_fmac_f16_e32 v49, -0.5, v56
	v_add_f16_e32 v56, v77, v52
	v_fmac_f16_e32 v48, -0.5, v56
	v_fmamk_f16 v56, v50, 0x3aee, v54
	v_fmac_f16_e32 v54, 0xbaee, v50
	v_sub_f16_e32 v50, v77, v52
	s_delay_alu instid0(VALU_DEP_1) | instskip(SKIP_3) | instid1(VALU_DEP_1)
	v_fmamk_f16 v60, v50, 0x3aee, v49
	v_fmac_f16_e32 v49, 0xbaee, v50
	v_add_f16_e32 v50, v59, v52
	v_sub_f16_e32 v52, v78, v53
	v_fmamk_f16 v59, v52, 0xbaee, v48
	v_fmac_f16_e32 v48, 0x3aee, v52
	v_add_f16_e32 v52, v58, v53
	v_mul_f16_e32 v53, 0xbaee, v60
	v_mul_f16_e32 v58, 0.5, v60
	s_delay_alu instid0(VALU_DEP_2) | instskip(NEXT) | instid1(VALU_DEP_2)
	v_fmac_f16_e32 v53, 0.5, v59
	v_fmac_f16_e32 v58, 0x3aee, v59
	v_mul_f16_e32 v59, 0xbaee, v49
	v_mul_f16_e32 v49, -0.5, v49
	s_delay_alu instid0(VALU_DEP_2) | instskip(NEXT) | instid1(VALU_DEP_2)
	v_fmac_f16_e32 v59, -0.5, v48
	v_fmac_f16_e32 v49, 0x3aee, v48
	v_add_f16_e32 v48, v55, v50
	v_sub_f16_e32 v50, v55, v50
	v_add_f16_e32 v55, v57, v53
	v_sub_f16_e32 v53, v57, v53
	;; [unrolled: 2-line block ×5, first 2 shown]
	v_add_f16_e32 v58, v54, v49
	v_pack_b32_f16 v59, v48, v59
	v_add_f16_e32 v48, v1, v40
	v_sub_f16_e32 v49, v54, v49
	v_pack_b32_f16 v52, v55, v52
	v_pack_b32_f16 v57, v57, v58
	;; [unrolled: 1-line block ×3, first 2 shown]
	v_add_f16_e32 v60, v48, v42
	v_add_f16_e32 v48, v61, v43
	v_pack_b32_f16 v0, v0, v49
	v_pack_b32_f16 v56, v53, v56
	s_delay_alu instid0(VALU_DEP_3) | instskip(SKIP_1) | instid1(VALU_DEP_1)
	v_add_f16_e32 v62, v48, v39
	v_add_f16_e32 v48, v26, v41
	;; [unrolled: 1-line block ×4, first 2 shown]
	s_delay_alu instid0(VALU_DEP_1) | instskip(NEXT) | instid1(VALU_DEP_3)
	v_add_f16_e32 v64, v48, v46
	v_add_f16_e32 v48, v60, v63
	s_delay_alu instid0(VALU_DEP_2) | instskip(NEXT) | instid1(VALU_DEP_1)
	v_add_f16_e32 v49, v62, v64
	v_pack_b32_f16 v65, v48, v49
	ds_load_2addr_b32 v[48:49], v111 offset0:120 offset1:180
	ds_store_b32 v111, v52 offset:1440
	ds_load_2addr_b32 v[50:51], v22 offset0:128 offset1:188
	ds_load_2addr_b32 v[52:53], v4 offset0:112 offset1:172
	ds_load_2addr_b32 v[54:55], v21 offset0:120 offset1:180
	ds_store_b32 v111, v57 offset:2880
	ds_store_b32 v111, v58 offset:4320
	;; [unrolled: 1-line block ×4, first 2 shown]
	ds_store_2addr_b32 v111, v59, v65 offset1:60
	v_lshrrev_b32_e32 v57, 16, v223
	v_add_f16_e32 v59, v32, v45
	s_wait_dscnt 0x7
	v_lshrrev_b32_e32 v0, 16, v50
	s_delay_alu instid0(VALU_DEP_3) | instskip(NEXT) | instid1(VALU_DEP_2)
	v_mul_f16_e32 v56, v57, v50
	v_mul_f16_e32 v57, v57, v0
	s_delay_alu instid0(VALU_DEP_2) | instskip(SKIP_1) | instid1(VALU_DEP_3)
	v_fma_f16 v0, v223, v0, -v56
	v_add_f16_e32 v56, v37, v35
	v_fmac_f16_e64 v57, v223, v50
	v_add_f16_e32 v50, v40, v42
	v_sub_f16_e32 v40, v40, v42
	s_delay_alu instid0(VALU_DEP_2) | instskip(SKIP_4) | instid1(VALU_DEP_4)
	v_fmac_f16_e32 v1, -0.5, v50
	v_add_f16_e32 v50, v43, v39
	v_sub_f16_e32 v39, v43, v39
	v_add_f16_e32 v43, v38, v46
	v_sub_f16_e32 v38, v38, v46
	v_fmac_f16_e32 v61, -0.5, v50
	v_lshrrev_b32_e32 v50, 16, v48
	s_delay_alu instid0(VALU_DEP_4)
	v_fmac_f16_e32 v30, -0.5, v43
	v_add_f16_e32 v43, v41, v47
	v_sub_f16_e32 v41, v41, v47
	v_sub_f16_e32 v47, v62, v64
	v_add_f16_e32 v58, v50, v37
	v_fmac_f16_e32 v50, -0.5, v56
	v_fmac_f16_e32 v26, -0.5, v43
	v_fmamk_f16 v42, v41, 0x3aee, v30
	v_add_f16_e32 v56, v45, v0
	v_sub_f16_e32 v45, v45, v0
	v_fmac_f16_e32 v30, 0xbaee, v41
	v_fmamk_f16 v46, v38, 0xbaee, v26
	v_mul_f16_e32 v43, 0xbaee, v42
	v_mul_f16_e32 v42, 0.5, v42
	v_fmac_f16_e32 v32, -0.5, v56
	v_add_f16_e32 v56, v44, v57
	v_fmac_f16_e32 v26, 0x3aee, v38
	v_fmac_f16_e32 v43, 0.5, v46
	v_fmac_f16_e32 v42, 0x3aee, v46
	v_sub_f16_e32 v46, v60, v63
	v_add_f16_e32 v60, v31, v44
	v_sub_f16_e32 v44, v44, v57
	v_fmac_f16_e32 v31, -0.5, v56
	v_mul_f16_e32 v38, 0xbaee, v30
	v_pack_b32_f16 v46, v46, v47
	v_fmamk_f16 v47, v39, 0xbaee, v1
	v_fmamk_f16 v56, v44, 0x3aee, v32
	;; [unrolled: 1-line block ×3, first 2 shown]
	v_fmac_f16_e32 v32, 0xbaee, v44
	v_mul_f16_e32 v30, -0.5, v30
	v_add_f16_e32 v64, v47, v43
	v_mul_f16_e32 v62, 0xbaee, v56
	v_mul_f16_e32 v56, 0.5, v56
	v_sub_f16_e32 v37, v37, v35
	v_fmac_f16_e32 v1, 0x3aee, v39
	v_fmac_f16_e32 v38, -0.5, v26
	v_fmac_f16_e32 v62, 0.5, v63
	v_fmac_f16_e32 v56, 0x3aee, v63
	v_fmamk_f16 v63, v40, 0x3aee, v61
	v_fmac_f16_e32 v61, 0xbaee, v40
	v_fmac_f16_e32 v30, 0x3aee, v26
	;; [unrolled: 1-line block ×3, first 2 shown]
	v_mul_f16_e32 v26, 0xbaee, v32
	v_add_f16_e32 v65, v63, v42
	v_mul_f16_e32 v32, -0.5, v32
	v_fmamk_f16 v77, v66, 0x3aee, v50
	v_fmac_f16_e32 v50, 0xbaee, v66
	v_fmac_f16_e32 v26, -0.5, v31
	v_pack_b32_f16 v64, v64, v65
	v_add_f16_e32 v65, v29, v33
	v_fmac_f16_e32 v32, 0x3aee, v31
	v_add_f16_e32 v31, v1, v38
	v_add_f16_e32 v29, v48, v29
	;; [unrolled: 1-line block ×3, first 2 shown]
	v_fma_f16 v65, -0.5, v65, v48
	v_add_f16_e32 v39, v50, v32
	v_add_f16_e32 v0, v59, v0
	;; [unrolled: 1-line block ×4, first 2 shown]
	v_fmamk_f16 v67, v37, 0xbaee, v65
	v_fmac_f16_e32 v65, 0x3aee, v37
	v_add_f16_e32 v37, v61, v30
	v_add_f16_e32 v35, v60, v57
	v_sub_f16_e32 v40, v77, v56
	v_add_f16_e32 v78, v67, v62
	v_sub_f16_e32 v1, v1, v38
	v_pack_b32_f16 v31, v31, v37
	v_add_f16_e32 v37, v65, v26
	v_sub_f16_e32 v41, v29, v35
	v_pack_b32_f16 v78, v78, v79
	ds_store_b32 v111, v46 offset:4560
	ds_store_2addr_b32 v74, v64, v78 offset0:164 offset1:224
	v_pack_b32_f16 v37, v37, v39
	v_sub_f16_e32 v39, v67, v62
	v_sub_f16_e32 v30, v61, v30
	;; [unrolled: 1-line block ×4, first 2 shown]
	ds_store_2addr_b32 v76, v31, v37 offset0:12 offset1:72
	v_sub_f16_e32 v31, v47, v43
	v_sub_f16_e32 v37, v63, v42
	;; [unrolled: 1-line block ×3, first 2 shown]
	v_pack_b32_f16 v1, v1, v30
	v_pack_b32_f16 v26, v26, v32
	v_add_f16_e32 v0, v33, v0
	v_pack_b32_f16 v31, v31, v37
	v_pack_b32_f16 v41, v41, v42
	;; [unrolled: 1-line block ×3, first 2 shown]
	v_add_nc_u32_e32 v39, 0x1600, v111
	v_add_f16_e32 v30, v9, v18
	v_add_f16_e32 v32, v10, v24
	ds_store_b32 v111, v41 offset:4800
	ds_store_2addr_b32 v22, v1, v26 offset0:68 offset1:128
	ds_store_2addr_b32 v39, v31, v37 offset0:92 offset1:152
	v_lshrrev_b32_e32 v31, 16, v51
	v_lshrrev_b32_e32 v39, 16, v212
	v_add_f16_e32 v1, v29, v35
	v_lshrrev_b32_e32 v26, 16, v49
	v_add_f16_e32 v38, v13, v23
	v_add_f16_e32 v41, v6, v36
	v_mul_f16_e32 v37, v39, v31
	v_mul_f16_e32 v39, v39, v51
	v_pack_b32_f16 v0, v1, v0
	v_add_f16_e32 v1, v49, v11
	v_add_f16_e32 v29, v26, v15
	v_fmac_f16_e64 v37, v212, v51
	v_fma_f16 v31, v212, v31, -v39
	s_delay_alu instid0(VALU_DEP_4) | instskip(NEXT) | instid1(VALU_DEP_4)
	v_add_f16_e32 v1, v1, v14
	v_add_f16_e32 v29, v29, v16
	s_delay_alu instid0(VALU_DEP_4) | instskip(NEXT) | instid1(VALU_DEP_4)
	v_add_f16_e32 v30, v30, v37
	v_add_f16_e32 v32, v32, v31
	s_delay_alu instid0(VALU_DEP_2) | instskip(NEXT) | instid1(VALU_DEP_2)
	v_add_f16_e32 v33, v1, v30
	v_add_f16_e32 v35, v29, v32
	s_delay_alu instid0(VALU_DEP_1)
	v_pack_b32_f16 v33, v33, v35
	v_add_f16_e32 v35, v12, v20
	ds_store_2addr_b32 v111, v0, v33 offset0:120 offset1:180
	v_sub_f16_e32 v0, v1, v30
	v_sub_f16_e32 v1, v29, v32
	s_wait_dscnt 0xc
	v_lshrrev_b32_e32 v29, 16, v54
	v_mul_f16_e64 v30, v234, v54
	s_delay_alu instid0(VALU_DEP_3) | instskip(NEXT) | instid1(VALU_DEP_3)
	v_pack_b32_f16 v0, v0, v1
	v_mul_f16_e64 v32, v234, v29
	s_delay_alu instid0(VALU_DEP_3) | instskip(SKIP_2) | instid1(VALU_DEP_4)
	v_fma_f16 v29, v228, v29, -v30
	v_lshrrev_b32_e32 v30, 16, v52
	v_add_f16_e32 v1, v52, v17
	v_fmac_f16_e64 v32, v228, v54
	s_delay_alu instid0(VALU_DEP_4) | instskip(NEXT) | instid1(VALU_DEP_4)
	v_add_f16_e32 v38, v38, v29
	v_add_f16_e32 v33, v30, v19
	s_delay_alu instid0(VALU_DEP_4) | instskip(NEXT) | instid1(VALU_DEP_4)
	v_add_f16_e32 v1, v1, v25
	v_add_f16_e32 v35, v35, v32
	s_delay_alu instid0(VALU_DEP_3) | instskip(NEXT) | instid1(VALU_DEP_2)
	v_add_f16_e32 v33, v33, v27
	v_sub_f16_e32 v39, v1, v35
	v_add_f16_e32 v1, v1, v35
	s_delay_alu instid0(VALU_DEP_3) | instskip(SKIP_2) | instid1(VALU_DEP_3)
	v_sub_f16_e32 v40, v33, v38
	v_add_f16_e32 v33, v33, v38
	v_lshrrev_b32_e32 v35, 16, v53
	v_pack_b32_f16 v39, v39, v40
	v_add_nc_u32_e32 v40, 0x1200, v111
	s_delay_alu instid0(VALU_DEP_4)
	v_pack_b32_f16 v1, v1, v33
	v_add_f16_e32 v33, v53, v3
	v_add_f16_e32 v38, v35, v7
	ds_store_2addr_b32 v40, v0, v39 offset0:108 offset1:168
	v_lshrrev_b32_e32 v0, 16, v55
	v_lshrrev_b32_e32 v40, 16, v224
	v_add_f16_e32 v33, v33, v5
	v_add_f16_e32 v38, v38, v8
	s_delay_alu instid0(VALU_DEP_3) | instskip(SKIP_1) | instid1(VALU_DEP_2)
	v_mul_f16_e32 v39, v40, v0
	v_mul_f16_e32 v40, v40, v55
	v_fmac_f16_e64 v39, v224, v55
	s_delay_alu instid0(VALU_DEP_2) | instskip(SKIP_1) | instid1(VALU_DEP_2)
	v_fma_f16 v0, v224, v0, -v40
	v_add_f16_e32 v40, v2, v34
	v_add_f16_e32 v41, v41, v0
	s_delay_alu instid0(VALU_DEP_2) | instskip(NEXT) | instid1(VALU_DEP_2)
	v_add_f16_e32 v40, v40, v39
	v_add_f16_e32 v43, v38, v41
	s_delay_alu instid0(VALU_DEP_2) | instskip(NEXT) | instid1(VALU_DEP_1)
	v_add_f16_e32 v42, v33, v40
	v_pack_b32_f16 v42, v42, v43
	ds_store_2addr_b32 v4, v1, v42 offset0:112 offset1:172
	v_add_f16_e32 v1, v24, v31
	v_sub_f16_e32 v4, v18, v37
	s_delay_alu instid0(VALU_DEP_2) | instskip(SKIP_4) | instid1(VALU_DEP_4)
	v_fmac_f16_e32 v10, -0.5, v1
	v_add_f16_e32 v1, v18, v37
	v_add_f16_e32 v37, v36, v0
	v_sub_f16_e32 v0, v36, v0
	v_add_f16_e32 v18, v11, v14
	v_fmac_f16_e32 v9, -0.5, v1
	s_delay_alu instid0(VALU_DEP_4)
	v_fmac_f16_e32 v6, -0.5, v37
	v_add_f16_e32 v37, v34, v39
	v_sub_f16_e32 v34, v34, v39
	v_add_f16_e32 v39, v3, v5
	v_fmac_f16_e32 v49, -0.5, v18
	v_sub_f16_e32 v1, v24, v31
	v_fmac_f16_e32 v2, -0.5, v37
	v_fmamk_f16 v36, v34, 0x3aee, v6
	v_fmac_f16_e32 v53, -0.5, v39
	v_fmac_f16_e32 v6, 0xbaee, v34
	v_sub_f16_e32 v34, v7, v8
	v_fmamk_f16 v18, v4, 0x3aee, v10
	v_fmac_f16_e32 v10, 0xbaee, v4
	v_sub_f16_e32 v4, v15, v16
	v_add_f16_e32 v39, v17, v25
	v_fmamk_f16 v37, v34, 0xbaee, v53
	v_fmac_f16_e32 v53, 0x3aee, v34
	v_fmamk_f16 v34, v0, 0xbaee, v2
	v_fmac_f16_e32 v2, 0x3aee, v0
	v_mul_f16_e32 v0, 0xbaee, v6
	v_fmamk_f16 v24, v4, 0xbaee, v49
	v_fmac_f16_e32 v49, 0x3aee, v4
	v_fmamk_f16 v4, v1, 0xbaee, v9
	v_fmac_f16_e32 v9, 0x3aee, v1
	v_fmac_f16_e32 v0, -0.5, v2
	v_mul_f16_e32 v1, 0xbaee, v10
	v_fma_f16 v39, -0.5, v39, v52
	s_delay_alu instid0(VALU_DEP_3)
	v_add_f16_e32 v42, v53, v0
	v_sub_f16_e32 v43, v53, v0
	v_add_f16_e32 v0, v15, v16
	v_add_f16_e32 v16, v23, v29
	v_sub_f16_e32 v15, v19, v27
	v_fmac_f16_e32 v1, -0.5, v9
	s_delay_alu instid0(VALU_DEP_4)
	v_fmac_f16_e32 v26, -0.5, v0
	v_sub_f16_e32 v0, v11, v14
	v_mul_f16_e32 v11, 0xbaee, v18
	v_mul_f16_e32 v14, 0.5, v18
	v_fmac_f16_e32 v13, -0.5, v16
	v_add_f16_e32 v16, v20, v32
	v_sub_f16_e32 v18, v20, v32
	v_fmac_f16_e32 v11, 0.5, v4
	v_fmac_f16_e32 v14, 0x3aee, v4
	v_add_f16_e32 v4, v19, v27
	v_fmac_f16_e32 v12, -0.5, v16
	v_sub_f16_e32 v16, v23, v29
	v_add_f16_e32 v23, v24, v11
	v_add_f16_e32 v31, v49, v1
	v_fmac_f16_e32 v30, -0.5, v4
	v_sub_f16_e32 v4, v17, v25
	v_fmamk_f16 v17, v18, 0x3aee, v13
	v_fmamk_f16 v20, v16, 0xbaee, v12
	v_fmac_f16_e32 v13, 0xbaee, v18
	v_fmac_f16_e32 v12, 0x3aee, v16
	v_fmamk_f16 v27, v4, 0x3aee, v30
	v_mul_f16_e32 v19, 0xbaee, v17
	v_mul_f16_e32 v17, 0.5, v17
	v_fmac_f16_e32 v30, 0xbaee, v4
	v_mul_f16_e32 v4, 0xbaee, v13
	v_sub_f16_e32 v1, v49, v1
	v_fmac_f16_e32 v19, 0.5, v20
	v_fmac_f16_e32 v17, 0x3aee, v20
	v_fmamk_f16 v20, v0, 0x3aee, v26
	v_fmac_f16_e32 v26, 0xbaee, v0
	v_mul_f16_e32 v0, -0.5, v10
	v_fmac_f16_e32 v4, -0.5, v12
	v_add_f16_e32 v32, v27, v17
	v_add_f16_e32 v25, v20, v14
	s_delay_alu instid0(VALU_DEP_4) | instskip(SKIP_1) | instid1(VALU_DEP_3)
	v_fmac_f16_e32 v0, 0x3aee, v9
	v_mul_f16_e32 v9, -0.5, v13
	v_pack_b32_f16 v23, v23, v25
	v_fmamk_f16 v25, v15, 0xbaee, v39
	v_fmac_f16_e32 v39, 0x3aee, v15
	s_delay_alu instid0(VALU_DEP_4)
	v_fmac_f16_e32 v9, 0x3aee, v12
	v_add_f16_e32 v10, v26, v0
	v_sub_f16_e32 v0, v26, v0
	v_add_f16_e32 v29, v25, v19
	v_add_f16_e32 v12, v39, v4
	;; [unrolled: 1-line block ×3, first 2 shown]
	v_sub_f16_e32 v4, v39, v4
	v_sub_f16_e32 v9, v30, v9
	v_pack_b32_f16 v10, v31, v10
	v_pack_b32_f16 v0, v1, v0
	;; [unrolled: 1-line block ×3, first 2 shown]
	v_sub_f16_e32 v13, v27, v17
	v_pack_b32_f16 v1, v4, v9
	v_mul_f16_e32 v4, 0.5, v36
	v_pack_b32_f16 v29, v29, v32
	ds_store_2addr_b32 v76, v10, v12 offset0:132 offset1:192
	v_sub_f16_e32 v10, v24, v11
	v_sub_f16_e32 v11, v20, v14
	;; [unrolled: 1-line block ×3, first 2 shown]
	ds_store_2addr_b32 v22, v0, v1 offset0:188 offset1:248
	v_mad_co_u64_u32 v[0:1], null, s14, v70, 0
	v_pack_b32_f16 v10, v10, v11
	v_pack_b32_f16 v11, v12, v13
	v_fmac_f16_e32 v4, 0x3aee, v34
	ds_store_2addr_b32 v28, v23, v29 offset0:28 offset1:88
	v_lshrrev_b32_e32 v30, 16, v172
	v_lshrrev_b32_e32 v32, 16, v167
	ds_store_2addr_b32 v72, v10, v11 offset0:84 offset1:144
	v_mad_co_u64_u32 v[9:10], null, s15, v70, v[1:2]
	v_add_f16_e32 v1, v7, v8
	v_sub_f16_e32 v7, v38, v41
	v_lshrrev_b32_e32 v39, 16, v159
	s_delay_alu instid0(VALU_DEP_3) | instskip(SKIP_2) | instid1(VALU_DEP_2)
	v_fmac_f16_e32 v35, -0.5, v1
	v_sub_f16_e32 v1, v3, v5
	v_mul_f16_e32 v5, -0.5, v6
	v_fmamk_f16 v3, v1, 0x3aee, v35
	v_fmac_f16_e32 v35, 0xbaee, v1
	v_mul_f16_e32 v1, 0xbaee, v36
	s_delay_alu instid0(VALU_DEP_4)
	v_fmac_f16_e32 v5, 0x3aee, v2
	v_sub_f16_e32 v2, v33, v40
	v_add_f16_e32 v8, v3, v4
	v_sub_f16_e32 v3, v3, v4
	v_fmac_f16_e32 v1, 0.5, v34
	v_add_f16_e32 v4, v35, v5
	v_sub_f16_e32 v5, v35, v5
	v_pack_b32_f16 v2, v2, v7
	v_lshrrev_b32_e32 v33, 16, v169
	v_add_f16_e32 v6, v37, v1
	v_sub_f16_e32 v1, v37, v1
	v_pack_b32_f16 v4, v42, v4
	v_lshrrev_b32_e32 v34, 16, v164
	v_lshrrev_b32_e32 v42, 16, v156
	v_pack_b32_f16 v6, v6, v8
	v_pack_b32_f16 v1, v1, v3
	;; [unrolled: 1-line block ×3, first 2 shown]
	ds_store_b32 v111, v6 offset:2640
	ds_store_b32 v111, v4 offset:4080
	;; [unrolled: 1-line block ×5, first 2 shown]
	global_wb scope:SCOPE_SE
	s_wait_dscnt 0x0
	s_barrier_signal -1
	s_barrier_wait -1
	global_inv scope:SCOPE_SE
	ds_load_2addr_b32 v[4:5], v111 offset1:60
	v_lshrrev_b32_e32 v43, 16, v157
	v_lshrrev_b32_e32 v36, 16, v161
	s_wait_dscnt 0x0
	v_lshrrev_b32_e32 v19, 16, v4
	v_mul_f16_e32 v1, v30, v4
	s_delay_alu instid0(VALU_DEP_1) | instskip(SKIP_1) | instid1(VALU_DEP_2)
	v_fma_f16 v1, v172, v19, -v1
	v_mul_f16_e32 v19, v30, v19
	v_cvt_f32_f16_e32 v1, v1
	s_delay_alu instid0(VALU_DEP_2) | instskip(NEXT) | instid1(VALU_DEP_2)
	v_fmac_f16_e64 v19, v172, v4
	v_cvt_f64_f32_e32 v[1:2], v1
	s_delay_alu instid0(VALU_DEP_2) | instskip(SKIP_1) | instid1(VALU_DEP_2)
	v_cvt_f32_f16_e32 v4, v19
	s_wait_alu 0xfffe
	v_mul_f64_e32 v[1:2], s[10:11], v[1:2]
	s_delay_alu instid0(VALU_DEP_1) | instskip(SKIP_3) | instid1(VALU_DEP_4)
	v_and_or_b32 v1, 0x1ff, v2, v1
	v_lshrrev_b32_e32 v3, 8, v2
	v_bfe_u32 v13, v2, 20, 11
	v_lshrrev_b32_e32 v2, 16, v2
	v_cmp_ne_u32_e64 s0, 0, v1
	s_wait_alu 0xf1ff
	s_delay_alu instid0(VALU_DEP_1) | instskip(NEXT) | instid1(VALU_DEP_1)
	v_cndmask_b32_e64 v1, 0, 1, s0
	v_and_or_b32 v3, 0xffe, v3, v1
	v_sub_nc_u32_e32 v1, 0x3f1, v13
	v_add_nc_u32_e32 v13, 0xfffffc10, v13
	s_delay_alu instid0(VALU_DEP_3) | instskip(NEXT) | instid1(VALU_DEP_3)
	v_or_b32_e32 v6, 0x1000, v3
	v_med3_i32 v1, v1, 0, 13
	s_delay_alu instid0(VALU_DEP_1) | instskip(NEXT) | instid1(VALU_DEP_1)
	v_lshrrev_b32_e32 v14, v1, v6
	v_lshlrev_b32_e32 v1, v1, v14
	s_delay_alu instid0(VALU_DEP_1) | instskip(SKIP_2) | instid1(VALU_DEP_1)
	v_cmp_ne_u32_e64 s0, v1, v6
	v_mad_co_u64_u32 v[6:7], null, s12, v171, 0
	v_mov_b32_e32 v1, v9
	v_lshlrev_b64_e32 v[0:1], 2, v[0:1]
	s_delay_alu instid0(VALU_DEP_3) | instskip(NEXT) | instid1(VALU_DEP_2)
	v_mad_co_u64_u32 v[7:8], null, s13, v171, v[7:8]
	v_add_co_u32 v23, s1, s4, v0
	s_wait_alu 0xf1ff
	s_delay_alu instid0(VALU_DEP_3) | instskip(NEXT) | instid1(VALU_DEP_3)
	v_add_co_ci_u32_e64 v24, s1, s5, v1, s1
	v_lshlrev_b64_e32 v[0:1], 2, v[6:7]
	s_delay_alu instid0(VALU_DEP_1) | instskip(SKIP_1) | instid1(VALU_DEP_2)
	v_add_co_u32 v15, s1, v23, v0
	s_wait_alu 0xf1ff
	v_add_co_ci_u32_e64 v16, s1, v24, v1, s1
	ds_load_2addr_b32 v[0:1], v111 offset0:120 offset1:216
	s_wait_dscnt 0x0
	v_lshrrev_b32_e32 v25, 16, v1
	v_mul_f16_e32 v6, v33, v1
	s_delay_alu instid0(VALU_DEP_1) | instskip(NEXT) | instid1(VALU_DEP_1)
	v_fma_f16 v6, v169, v25, -v6
	v_cvt_f32_f16_e32 v6, v6
	s_delay_alu instid0(VALU_DEP_1) | instskip(NEXT) | instid1(VALU_DEP_1)
	v_cvt_f64_f32_e32 v[6:7], v6
	v_mul_f64_e32 v[17:18], s[10:11], v[6:7]
	s_delay_alu instid0(VALU_DEP_1) | instskip(SKIP_2) | instid1(VALU_DEP_3)
	v_and_or_b32 v6, 0x1ff, v18, v17
	v_lshrrev_b32_e32 v7, 8, v18
	v_bfe_u32 v26, v18, 20, 11
	v_cmp_ne_u32_e64 s1, 0, v6
	s_wait_alu 0xf1ff
	s_delay_alu instid0(VALU_DEP_1) | instskip(NEXT) | instid1(VALU_DEP_1)
	v_cndmask_b32_e64 v6, 0, 1, s1
	v_and_or_b32 v17, 0xffe, v7, v6
	v_sub_nc_u32_e32 v6, 0x3f1, v26
	s_delay_alu instid0(VALU_DEP_2) | instskip(NEXT) | instid1(VALU_DEP_2)
	v_or_b32_e32 v7, 0x1000, v17
	v_med3_i32 v6, v6, 0, 13
	s_delay_alu instid0(VALU_DEP_1) | instskip(NEXT) | instid1(VALU_DEP_1)
	v_lshrrev_b32_e32 v27, v6, v7
	v_lshlrev_b32_e32 v6, v6, v27
	s_delay_alu instid0(VALU_DEP_1) | instskip(SKIP_4) | instid1(VALU_DEP_1)
	v_cmp_ne_u32_e64 s2, v6, v7
	ds_load_2addr_b32 v[6:7], v74 offset0:176 offset1:236
	s_wait_dscnt 0x0
	v_lshrrev_b32_e32 v10, 16, v6
	v_mul_f16_e32 v8, v32, v6
	v_fma_f16 v8, v167, v10, -v8
	v_mul_f16_e32 v10, v32, v10
	s_delay_alu instid0(VALU_DEP_2) | instskip(NEXT) | instid1(VALU_DEP_2)
	v_cvt_f32_f16_e32 v8, v8
	v_fmac_f16_e64 v10, v167, v6
	s_delay_alu instid0(VALU_DEP_2) | instskip(NEXT) | instid1(VALU_DEP_2)
	v_cvt_f64_f32_e32 v[8:9], v8
	v_cvt_f32_f16_e32 v6, v10
	s_delay_alu instid0(VALU_DEP_2) | instskip(NEXT) | instid1(VALU_DEP_1)
	v_mul_f64_e32 v[8:9], s[10:11], v[8:9]
	v_and_or_b32 v8, 0x1ff, v9, v8
	v_lshrrev_b32_e32 v11, 8, v9
	s_delay_alu instid0(VALU_DEP_2) | instskip(SKIP_1) | instid1(VALU_DEP_1)
	v_cmp_ne_u32_e64 s1, 0, v8
	s_wait_alu 0xf1ff
	v_cndmask_b32_e64 v8, 0, 1, s1
	s_delay_alu instid0(VALU_DEP_1) | instskip(SKIP_2) | instid1(VALU_DEP_3)
	v_and_or_b32 v8, 0xffe, v11, v8
	v_bfe_u32 v11, v9, 20, 11
	v_lshrrev_b32_e32 v9, 16, v9
	v_or_b32_e32 v29, 0x1000, v8
	s_delay_alu instid0(VALU_DEP_3) | instskip(SKIP_1) | instid1(VALU_DEP_2)
	v_sub_nc_u32_e32 v12, 0x3f1, v11
	v_add_nc_u32_e32 v11, 0xfffffc10, v11
	v_med3_i32 v20, v12, 0, 13
	s_delay_alu instid0(VALU_DEP_1) | instskip(NEXT) | instid1(VALU_DEP_1)
	v_lshrrev_b32_e32 v12, v20, v29
	v_lshlrev_b32_e32 v20, v20, v12
	s_delay_alu instid0(VALU_DEP_1) | instskip(SKIP_1) | instid1(VALU_DEP_1)
	v_cmp_ne_u32_e64 s1, v20, v29
	v_cvt_f64_f32_e32 v[19:20], v4
	v_mul_f64_e32 v[19:20], s[10:11], v[19:20]
	s_delay_alu instid0(VALU_DEP_1) | instskip(SKIP_1) | instid1(VALU_DEP_2)
	v_and_or_b32 v4, 0x1ff, v20, v19
	v_lshrrev_b32_e32 v19, 8, v20
	v_cmp_ne_u32_e64 s3, 0, v4
	s_wait_alu 0xf1ff
	s_delay_alu instid0(VALU_DEP_1) | instskip(NEXT) | instid1(VALU_DEP_1)
	v_cndmask_b32_e64 v4, 0, 1, s3
	v_and_or_b32 v4, 0xffe, v19, v4
	v_bfe_u32 v19, v20, 20, 11
	s_delay_alu instid0(VALU_DEP_2) | instskip(NEXT) | instid1(VALU_DEP_2)
	v_or_b32_e32 v30, 0x1000, v4
	v_sub_nc_u32_e32 v29, 0x3f1, v19
	v_add_nc_u32_e32 v19, 0xfffffc10, v19
	v_cmp_ne_u32_e64 s4, 0, v4
	s_delay_alu instid0(VALU_DEP_3) | instskip(NEXT) | instid1(VALU_DEP_1)
	v_med3_i32 v29, v29, 0, 13
	v_lshrrev_b32_e32 v31, v29, v30
	s_delay_alu instid0(VALU_DEP_1) | instskip(NEXT) | instid1(VALU_DEP_1)
	v_lshlrev_b32_e32 v29, v29, v31
	v_cmp_ne_u32_e64 s3, v29, v30
	v_lshl_or_b32 v30, v19, 12, v4
	s_wait_alu 0xf1ff
	s_delay_alu instid0(VALU_DEP_2) | instskip(SKIP_1) | instid1(VALU_DEP_2)
	v_cndmask_b32_e64 v29, 0, 1, s3
	v_cmp_gt_i32_e64 s3, 1, v19
	v_or_b32_e32 v29, v31, v29
	s_wait_alu 0xf1ff
	s_delay_alu instid0(VALU_DEP_1) | instskip(SKIP_2) | instid1(VALU_DEP_2)
	v_cndmask_b32_e64 v29, v30, v29, s3
	v_cndmask_b32_e64 v30, 0, 1, s0
	v_cmp_gt_i32_e64 s0, 1, v13
	v_or_b32_e32 v14, v14, v30
	v_lshl_or_b32 v30, v13, 12, v3
	s_wait_alu 0xf1ff
	s_delay_alu instid0(VALU_DEP_1) | instskip(SKIP_1) | instid1(VALU_DEP_2)
	v_cndmask_b32_e64 v14, v30, v14, s0
	v_and_b32_e32 v30, 7, v29
	v_and_b32_e32 v4, 7, v14
	s_delay_alu instid0(VALU_DEP_2) | instskip(SKIP_1) | instid1(VALU_DEP_3)
	v_cmp_lt_i32_e64 s0, 5, v30
	v_cmp_eq_u32_e64 s3, 3, v30
	v_cmp_lt_i32_e64 s5, 5, v4
	v_cmp_eq_u32_e64 s6, 3, v4
	v_lshrrev_b32_e32 v4, 2, v29
	s_delay_alu instid0(VALU_DEP_4) | instskip(SKIP_1) | instid1(VALU_DEP_3)
	s_or_b32 s0, s3, s0
	v_cndmask_b32_e64 v29, 0, 1, s4
	s_or_b32 s3, s6, s5
	s_wait_alu 0xfffe
	v_add_co_ci_u32_e64 v4, s0, 0, v4, s0
	v_cmp_gt_i32_e64 s0, 31, v19
	v_lshl_or_b32 v29, v29, 9, 0x7c00
	s_mul_u64 s[4:5], s[12:13], 0xd8
	v_cmp_ne_u32_e64 s6, 0, v8
	s_wait_alu 0xfffe
	s_lshl_b64 s[14:15], s[4:5], 2
	v_cndmask_b32_e64 v4, 0x7c00, v4, s0
	v_cmp_eq_u32_e64 s0, 0x40f, v19
	v_lshrrev_b32_e32 v19, 16, v20
	s_wait_alu 0xf1ff
	s_delay_alu instid0(VALU_DEP_2) | instskip(SKIP_2) | instid1(VALU_DEP_3)
	v_cndmask_b32_e64 v4, v4, v29, s0
	v_cmp_ne_u32_e64 s0, 0, v3
	v_lshrrev_b32_e32 v3, 2, v14
	v_and_or_b32 v4, 0x8000, v19, v4
	s_wait_alu 0xf1ff
	s_delay_alu instid0(VALU_DEP_3) | instskip(NEXT) | instid1(VALU_DEP_3)
	v_cndmask_b32_e64 v14, 0, 1, s0
	v_add_co_ci_u32_e64 v3, s3, 0, v3, s3
	v_cmp_gt_i32_e64 s3, 31, v13
	v_cmp_eq_u32_e64 s0, 0x40f, v13
	s_delay_alu instid0(VALU_DEP_4) | instskip(SKIP_1) | instid1(VALU_DEP_3)
	v_lshl_or_b32 v14, v14, 9, 0x7c00
	s_wait_alu 0xf1ff
	v_cndmask_b32_e64 v3, 0x7c00, v3, s3
	s_delay_alu instid0(VALU_DEP_1) | instskip(NEXT) | instid1(VALU_DEP_1)
	v_cndmask_b32_e64 v3, v3, v14, s0
	v_and_or_b32 v2, 0x8000, v2, v3
	v_and_b32_e32 v3, 0xffff, v4
	v_mul_f16_e32 v4, v33, v25
	v_lshrrev_b32_e32 v33, 16, v166
	s_delay_alu instid0(VALU_DEP_3) | instskip(NEXT) | instid1(VALU_DEP_3)
	v_lshl_or_b32 v2, v2, 16, v3
	v_fmac_f16_e64 v4, v169, v1
	global_store_b32 v[15:16], v2, off
	v_cvt_f32_f16_e32 v1, v4
	s_wait_alu 0xfffe
	v_add_co_u32 v2, s0, v15, s14
	s_wait_alu 0xf1ff
	v_add_co_ci_u32_e64 v3, s0, s15, v16, s0
	v_cvt_f64_f32_e32 v[13:14], v1
	s_delay_alu instid0(VALU_DEP_1) | instskip(NEXT) | instid1(VALU_DEP_1)
	v_mul_f64_e32 v[13:14], s[10:11], v[13:14]
	v_and_or_b32 v1, 0x1ff, v14, v13
	v_lshrrev_b32_e32 v4, 8, v14
	s_delay_alu instid0(VALU_DEP_2) | instskip(SKIP_1) | instid1(VALU_DEP_1)
	v_cmp_ne_u32_e64 s0, 0, v1
	s_wait_alu 0xf1ff
	v_cndmask_b32_e64 v1, 0, 1, s0
	s_delay_alu instid0(VALU_DEP_1) | instskip(SKIP_1) | instid1(VALU_DEP_2)
	v_and_or_b32 v1, 0xffe, v4, v1
	v_bfe_u32 v4, v14, 20, 11
	v_or_b32_e32 v15, 0x1000, v1
	s_delay_alu instid0(VALU_DEP_2) | instskip(SKIP_1) | instid1(VALU_DEP_2)
	v_sub_nc_u32_e32 v13, 0x3f1, v4
	v_add_nc_u32_e32 v4, 0xfffffc10, v4
	v_med3_i32 v13, v13, 0, 13
	s_delay_alu instid0(VALU_DEP_1) | instskip(NEXT) | instid1(VALU_DEP_1)
	v_lshrrev_b32_e32 v16, v13, v15
	v_lshlrev_b32_e32 v13, v13, v16
	s_delay_alu instid0(VALU_DEP_1) | instskip(SKIP_2) | instid1(VALU_DEP_2)
	v_cmp_ne_u32_e64 s0, v13, v15
	v_lshl_or_b32 v15, v4, 12, v1
	s_wait_alu 0xf1ff
	v_cndmask_b32_e64 v13, 0, 1, s0
	v_cmp_gt_i32_e64 s0, 1, v4
	s_delay_alu instid0(VALU_DEP_2) | instskip(SKIP_1) | instid1(VALU_DEP_1)
	v_or_b32_e32 v13, v16, v13
	s_wait_alu 0xf1ff
	v_cndmask_b32_e64 v13, v15, v13, s0
	s_delay_alu instid0(VALU_DEP_1) | instskip(SKIP_1) | instid1(VALU_DEP_2)
	v_and_b32_e32 v15, 7, v13
	v_lshrrev_b32_e32 v13, 2, v13
	v_cmp_lt_i32_e64 s0, 5, v15
	v_cmp_eq_u32_e64 s3, 3, v15
	v_cndmask_b32_e64 v15, 0, 1, s2
	v_cmp_ne_u32_e64 s2, 0, v1
	v_add_nc_u32_e32 v1, 0xfffffc10, v26
	s_delay_alu instid0(VALU_DEP_4) | instskip(NEXT) | instid1(VALU_DEP_3)
	s_or_b32 s0, s3, s0
	v_or_b32_e32 v15, v27, v15
	s_wait_alu 0xfffe
	v_add_co_ci_u32_e64 v13, s0, 0, v13, s0
	v_lshl_or_b32 v16, v1, 12, v17
	v_cmp_gt_i32_e64 s4, 1, v1
	v_cmp_gt_i32_e64 s0, 31, v4
	v_cmp_ne_u32_e64 s3, 0, v17
	s_wait_alu 0xf1ff
	s_delay_alu instid0(VALU_DEP_3) | instskip(SKIP_3) | instid1(VALU_DEP_3)
	v_cndmask_b32_e64 v15, v16, v15, s4
	v_cndmask_b32_e64 v16, 0, 1, s2
	;; [unrolled: 1-line block ×3, first 2 shown]
	v_cmp_eq_u32_e64 s0, 0x40f, v4
	v_lshl_or_b32 v16, v16, 9, 0x7c00
	s_wait_alu 0xf1ff
	s_delay_alu instid0(VALU_DEP_1) | instskip(SKIP_1) | instid1(VALU_DEP_1)
	v_cndmask_b32_e64 v4, v13, v16, s0
	v_and_b32_e32 v13, 7, v15
	v_cmp_lt_i32_e64 s0, 5, v13
	v_cmp_eq_u32_e64 s2, 3, v13
	v_lshrrev_b32_e32 v13, 16, v14
	v_lshrrev_b32_e32 v14, 2, v15
	v_cndmask_b32_e64 v15, 0, 1, s3
	s_delay_alu instid0(VALU_DEP_4) | instskip(NEXT) | instid1(VALU_DEP_3)
	s_or_b32 s0, s2, s0
	v_and_or_b32 v4, 0x8000, v13, v4
	s_wait_alu 0xfffe
	v_add_co_ci_u32_e64 v14, s0, 0, v14, s0
	v_cmp_gt_i32_e64 s0, 31, v1
	v_lshl_or_b32 v15, v15, 9, 0x7c00
	v_and_b32_e32 v4, 0xffff, v4
	s_wait_alu 0xf1ff
	s_delay_alu instid0(VALU_DEP_3) | instskip(SKIP_2) | instid1(VALU_DEP_1)
	v_cndmask_b32_e64 v14, 0x7c00, v14, s0
	v_cmp_eq_u32_e64 s0, 0x40f, v1
	s_wait_alu 0xf1ff
	v_cndmask_b32_e64 v1, v14, v15, s0
	v_lshrrev_b32_e32 v14, 16, v18
	s_delay_alu instid0(VALU_DEP_1) | instskip(NEXT) | instid1(VALU_DEP_1)
	v_and_or_b32 v1, 0x8000, v14, v1
	v_lshl_or_b32 v1, v1, 16, v4
	global_store_b32 v[2:3], v1, off
	v_add_co_u32 v1, s0, v2, s14
	s_wait_alu 0xf1ff
	v_add_co_ci_u32_e64 v2, s0, s15, v3, s0
	ds_load_2addr_b32 v[3:4], v28 offset0:40 offset1:136
	s_wait_dscnt 0x0
	v_lshrrev_b32_e32 v19, 16, v4
	v_mul_f16_e32 v13, v33, v4
	s_delay_alu instid0(VALU_DEP_1) | instskip(NEXT) | instid1(VALU_DEP_1)
	v_fma_f16 v13, v166, v19, -v13
	v_cvt_f32_f16_e32 v13, v13
	s_delay_alu instid0(VALU_DEP_1) | instskip(NEXT) | instid1(VALU_DEP_1)
	v_cvt_f64_f32_e32 v[13:14], v13
	v_mul_f64_e32 v[15:16], s[10:11], v[13:14]
	s_delay_alu instid0(VALU_DEP_1) | instskip(SKIP_2) | instid1(VALU_DEP_3)
	v_and_or_b32 v13, 0x1ff, v16, v15
	v_lshrrev_b32_e32 v14, 8, v16
	v_bfe_u32 v28, v16, 20, 11
	v_cmp_ne_u32_e64 s0, 0, v13
	s_wait_alu 0xf1ff
	s_delay_alu instid0(VALU_DEP_1) | instskip(NEXT) | instid1(VALU_DEP_1)
	v_cndmask_b32_e64 v13, 0, 1, s0
	v_and_or_b32 v20, 0xffe, v14, v13
	v_sub_nc_u32_e32 v13, 0x3f1, v28
	s_delay_alu instid0(VALU_DEP_2) | instskip(NEXT) | instid1(VALU_DEP_2)
	v_or_b32_e32 v14, 0x1000, v20
	v_med3_i32 v13, v13, 0, 13
	s_delay_alu instid0(VALU_DEP_1) | instskip(NEXT) | instid1(VALU_DEP_1)
	v_lshrrev_b32_e32 v29, v13, v14
	v_lshlrev_b32_e32 v13, v13, v29
	s_delay_alu instid0(VALU_DEP_1) | instskip(SKIP_1) | instid1(VALU_DEP_1)
	v_cmp_ne_u32_e64 s3, v13, v14
	v_cvt_f64_f32_e32 v[13:14], v6
	v_mul_f64_e32 v[13:14], s[10:11], v[13:14]
	s_delay_alu instid0(VALU_DEP_1) | instskip(SKIP_1) | instid1(VALU_DEP_2)
	v_and_or_b32 v6, 0x1ff, v14, v13
	v_lshrrev_b32_e32 v10, 8, v14
	v_cmp_ne_u32_e64 s0, 0, v6
	s_wait_alu 0xf1ff
	s_delay_alu instid0(VALU_DEP_1) | instskip(NEXT) | instid1(VALU_DEP_1)
	v_cndmask_b32_e64 v6, 0, 1, s0
	v_and_or_b32 v6, 0xffe, v10, v6
	v_bfe_u32 v10, v14, 20, 11
	s_delay_alu instid0(VALU_DEP_2) | instskip(NEXT) | instid1(VALU_DEP_2)
	v_or_b32_e32 v15, 0x1000, v6
	v_sub_nc_u32_e32 v13, 0x3f1, v10
	v_add_nc_u32_e32 v10, 0xfffffc10, v10
	v_cmp_ne_u32_e64 s2, 0, v6
	s_delay_alu instid0(VALU_DEP_3) | instskip(NEXT) | instid1(VALU_DEP_1)
	v_med3_i32 v13, v13, 0, 13
	v_lshrrev_b32_e32 v17, v13, v15
	s_delay_alu instid0(VALU_DEP_1) | instskip(NEXT) | instid1(VALU_DEP_1)
	v_lshlrev_b32_e32 v13, v13, v17
	v_cmp_ne_u32_e64 s0, v13, v15
	v_lshl_or_b32 v15, v10, 12, v6
	s_wait_alu 0xf1ff
	s_delay_alu instid0(VALU_DEP_2) | instskip(SKIP_1) | instid1(VALU_DEP_2)
	v_cndmask_b32_e64 v13, 0, 1, s0
	v_cmp_gt_i32_e64 s0, 1, v10
	v_or_b32_e32 v13, v17, v13
	s_wait_alu 0xf1ff
	s_delay_alu instid0(VALU_DEP_1) | instskip(SKIP_2) | instid1(VALU_DEP_2)
	v_cndmask_b32_e64 v13, v15, v13, s0
	v_cndmask_b32_e64 v15, 0, 1, s1
	v_cmp_gt_i32_e64 s0, 1, v11
	v_or_b32_e32 v12, v12, v15
	v_lshl_or_b32 v15, v11, 12, v8
	v_cndmask_b32_e64 v8, 0, 1, s2
	s_wait_alu 0xf1ff
	s_delay_alu instid0(VALU_DEP_2) | instskip(SKIP_1) | instid1(VALU_DEP_3)
	v_cndmask_b32_e64 v12, v15, v12, s0
	v_and_b32_e32 v15, 7, v13
	v_lshl_or_b32 v8, v8, 9, 0x7c00
	s_delay_alu instid0(VALU_DEP_3) | instskip(NEXT) | instid1(VALU_DEP_3)
	v_and_b32_e32 v6, 7, v12
	v_cmp_lt_i32_e64 s0, 5, v15
	v_cmp_eq_u32_e64 s1, 3, v15
	s_delay_alu instid0(VALU_DEP_3) | instskip(SKIP_2) | instid1(VALU_DEP_4)
	v_cmp_lt_i32_e64 s4, 5, v6
	v_cmp_eq_u32_e64 s5, 3, v6
	v_lshrrev_b32_e32 v6, 2, v13
	s_or_b32 s0, s1, s0
	s_wait_alu 0xfffe
	s_delay_alu instid0(VALU_DEP_1) | instskip(SKIP_2) | instid1(VALU_DEP_1)
	v_add_co_ci_u32_e64 v6, s0, 0, v6, s0
	v_cmp_gt_i32_e64 s0, 31, v10
	s_wait_alu 0xf1ff
	v_cndmask_b32_e64 v6, 0x7c00, v6, s0
	v_cmp_eq_u32_e64 s0, 0x40f, v10
	v_lshrrev_b32_e32 v10, 2, v12
	v_cndmask_b32_e64 v12, 0, 1, s6
	s_wait_alu 0xf1ff
	s_delay_alu instid0(VALU_DEP_3) | instskip(SKIP_1) | instid1(VALU_DEP_2)
	v_cndmask_b32_e64 v6, v6, v8, s0
	s_or_b32 s0, s5, s4
	v_lshl_or_b32 v12, v12, 9, 0x7c00
	s_wait_alu 0xfffe
	v_add_co_ci_u32_e64 v10, s0, 0, v10, s0
	v_cmp_gt_i32_e64 s0, 31, v11
	v_lshrrev_b32_e32 v8, 16, v14
	s_wait_alu 0xf1ff
	s_delay_alu instid0(VALU_DEP_2) | instskip(SKIP_1) | instid1(VALU_DEP_3)
	v_cndmask_b32_e64 v10, 0x7c00, v10, s0
	v_cmp_eq_u32_e64 s0, 0x40f, v11
	v_and_or_b32 v6, 0x8000, v8, v6
	s_wait_alu 0xf1ff
	s_delay_alu instid0(VALU_DEP_2) | instskip(NEXT) | instid1(VALU_DEP_2)
	v_cndmask_b32_e64 v10, v10, v12, s0
	v_and_b32_e32 v6, 0xffff, v6
	v_add_co_u32 v17, s0, v1, s14
	s_wait_alu 0xf1ff
	v_add_co_ci_u32_e64 v18, s0, s15, v2, s0
	v_and_or_b32 v8, 0x8000, v9, v10
	ds_load_2addr_b32 v[9:10], v76 offset0:96 offset1:156
	v_lshl_or_b32 v6, v8, 16, v6
	global_store_b32 v[1:2], v6, off
	s_wait_dscnt 0x0
	v_lshrrev_b32_e32 v8, 16, v9
	v_mul_f16_e32 v1, v34, v9
	s_delay_alu instid0(VALU_DEP_1) | instskip(SKIP_1) | instid1(VALU_DEP_2)
	v_fma_f16 v1, v164, v8, -v1
	v_mul_f16_e32 v8, v34, v8
	v_cvt_f32_f16_e32 v1, v1
	s_delay_alu instid0(VALU_DEP_2) | instskip(NEXT) | instid1(VALU_DEP_2)
	v_fmac_f16_e64 v8, v164, v9
	v_cvt_f64_f32_e32 v[1:2], v1
	s_delay_alu instid0(VALU_DEP_2) | instskip(NEXT) | instid1(VALU_DEP_1)
	v_cvt_f32_f16_e32 v8, v8
	v_cvt_f64_f32_e32 v[8:9], v8
	s_delay_alu instid0(VALU_DEP_3) | instskip(NEXT) | instid1(VALU_DEP_2)
	v_mul_f64_e32 v[12:13], s[10:11], v[1:2]
	v_mul_f64_e32 v[8:9], s[10:11], v[8:9]
	s_delay_alu instid0(VALU_DEP_2) | instskip(SKIP_3) | instid1(VALU_DEP_4)
	v_and_or_b32 v1, 0x1ff, v13, v12
	v_lshrrev_b32_e32 v2, 8, v13
	v_bfe_u32 v31, v13, 20, 11
	v_lshrrev_b32_e32 v13, 16, v13
	v_cmp_ne_u32_e64 s0, 0, v1
	v_and_or_b32 v8, 0x1ff, v9, v8
	s_wait_alu 0xf1ff
	s_delay_alu instid0(VALU_DEP_2) | instskip(NEXT) | instid1(VALU_DEP_1)
	v_cndmask_b32_e64 v1, 0, 1, s0
	v_and_or_b32 v30, 0xffe, v2, v1
	v_sub_nc_u32_e32 v1, 0x3f1, v31
	v_add_nc_u32_e32 v31, 0xfffffc10, v31
	s_delay_alu instid0(VALU_DEP_3) | instskip(NEXT) | instid1(VALU_DEP_3)
	v_or_b32_e32 v2, 0x1000, v30
	v_med3_i32 v1, v1, 0, 13
	s_delay_alu instid0(VALU_DEP_1) | instskip(NEXT) | instid1(VALU_DEP_1)
	v_lshrrev_b32_e32 v32, v1, v2
	v_lshlrev_b32_e32 v1, v1, v32
	s_delay_alu instid0(VALU_DEP_1)
	v_cmp_ne_u32_e64 s2, v1, v2
	v_add_nc_u32_e32 v1, 0xe00, v111
	ds_load_2addr_b32 v[1:2], v1 offset0:88 offset1:184
	s_wait_dscnt 0x0
	v_lshrrev_b32_e32 v6, 16, v2
	v_mul_f16_e32 v11, v39, v2
	s_delay_alu instid0(VALU_DEP_1) | instskip(SKIP_1) | instid1(VALU_DEP_2)
	v_fma_f16 v11, v159, v6, -v11
	v_mul_f16_e32 v6, v39, v6
	v_cvt_f32_f16_e32 v11, v11
	s_delay_alu instid0(VALU_DEP_2) | instskip(NEXT) | instid1(VALU_DEP_2)
	v_fmac_f16_e64 v6, v159, v2
	v_cvt_f64_f32_e32 v[11:12], v11
	s_delay_alu instid0(VALU_DEP_2) | instskip(NEXT) | instid1(VALU_DEP_2)
	v_cvt_f32_f16_e32 v2, v6
	v_mul_f64_e32 v[14:15], s[10:11], v[11:12]
	s_delay_alu instid0(VALU_DEP_1) | instskip(SKIP_3) | instid1(VALU_DEP_4)
	v_and_or_b32 v11, 0x1ff, v15, v14
	v_lshrrev_b32_e32 v12, 8, v15
	v_bfe_u32 v26, v15, 20, 11
	v_lshrrev_b32_e32 v15, 16, v15
	v_cmp_ne_u32_e64 s0, 0, v11
	s_wait_alu 0xf1ff
	s_delay_alu instid0(VALU_DEP_1) | instskip(NEXT) | instid1(VALU_DEP_1)
	v_cndmask_b32_e64 v11, 0, 1, s0
	v_and_or_b32 v25, 0xffe, v12, v11
	v_sub_nc_u32_e32 v11, 0x3f1, v26
	v_add_nc_u32_e32 v26, 0xfffffc10, v26
	s_delay_alu instid0(VALU_DEP_3) | instskip(NEXT) | instid1(VALU_DEP_3)
	v_or_b32_e32 v12, 0x1000, v25
	v_med3_i32 v11, v11, 0, 13
	v_cmp_ne_u32_e64 s8, 0, v25
	s_delay_alu instid0(VALU_DEP_2) | instskip(NEXT) | instid1(VALU_DEP_1)
	v_lshrrev_b32_e32 v27, v11, v12
	v_lshlrev_b32_e32 v11, v11, v27
	s_delay_alu instid0(VALU_DEP_1) | instskip(SKIP_1) | instid1(VALU_DEP_1)
	v_cmp_ne_u32_e64 s0, v11, v12
	v_mul_f16_e32 v11, v33, v19
	v_fmac_f16_e64 v11, v166, v4
	s_delay_alu instid0(VALU_DEP_1) | instskip(NEXT) | instid1(VALU_DEP_1)
	v_cvt_f32_f16_e32 v4, v11
	v_cvt_f64_f32_e32 v[11:12], v4
	s_delay_alu instid0(VALU_DEP_1) | instskip(NEXT) | instid1(VALU_DEP_1)
	v_mul_f64_e32 v[11:12], s[10:11], v[11:12]
	v_and_or_b32 v4, 0x1ff, v12, v11
	v_lshrrev_b32_e32 v11, 8, v12
	s_delay_alu instid0(VALU_DEP_2) | instskip(SKIP_1) | instid1(VALU_DEP_1)
	v_cmp_ne_u32_e64 s1, 0, v4
	s_wait_alu 0xf1ff
	v_cndmask_b32_e64 v4, 0, 1, s1
	s_delay_alu instid0(VALU_DEP_1) | instskip(SKIP_2) | instid1(VALU_DEP_3)
	v_and_or_b32 v4, 0xffe, v11, v4
	v_bfe_u32 v11, v12, 20, 11
	v_lshrrev_b32_e32 v12, 16, v12
	v_or_b32_e32 v19, 0x1000, v4
	s_delay_alu instid0(VALU_DEP_3) | instskip(SKIP_1) | instid1(VALU_DEP_2)
	v_sub_nc_u32_e32 v14, 0x3f1, v11
	v_add_nc_u32_e32 v11, 0xfffffc10, v11
	v_med3_i32 v14, v14, 0, 13
	s_delay_alu instid0(VALU_DEP_1) | instskip(NEXT) | instid1(VALU_DEP_1)
	v_lshrrev_b32_e32 v33, v14, v19
	v_lshlrev_b32_e32 v14, v14, v33
	s_delay_alu instid0(VALU_DEP_1) | instskip(SKIP_2) | instid1(VALU_DEP_2)
	v_cmp_ne_u32_e64 s1, v14, v19
	v_lshl_or_b32 v19, v11, 12, v4
	s_wait_alu 0xf1ff
	v_cndmask_b32_e64 v14, 0, 1, s1
	v_cmp_gt_i32_e64 s1, 1, v11
	s_delay_alu instid0(VALU_DEP_2) | instskip(SKIP_1) | instid1(VALU_DEP_1)
	v_or_b32_e32 v14, v33, v14
	s_wait_alu 0xf1ff
	v_cndmask_b32_e64 v14, v19, v14, s1
	s_delay_alu instid0(VALU_DEP_1) | instskip(SKIP_1) | instid1(VALU_DEP_2)
	v_and_b32_e32 v19, 7, v14
	v_lshrrev_b32_e32 v14, 2, v14
	v_cmp_lt_i32_e64 s1, 5, v19
	v_cmp_eq_u32_e64 s4, 3, v19
	v_cndmask_b32_e64 v19, 0, 1, s3
	v_cmp_ne_u32_e64 s3, 0, v4
	v_add_nc_u32_e32 v4, 0xfffffc10, v28
	s_delay_alu instid0(VALU_DEP_4) | instskip(NEXT) | instid1(VALU_DEP_3)
	s_or_b32 s1, s4, s1
	v_or_b32_e32 v19, v29, v19
	s_wait_alu 0xfffe
	v_add_co_ci_u32_e64 v14, s1, 0, v14, s1
	v_lshl_or_b32 v28, v4, 12, v20
	v_cmp_gt_i32_e64 s5, 1, v4
	v_cmp_gt_i32_e64 s1, 31, v11
	v_cmp_ne_u32_e64 s4, 0, v20
	s_wait_alu 0xf1ff
	s_delay_alu instid0(VALU_DEP_3) | instskip(SKIP_3) | instid1(VALU_DEP_3)
	v_cndmask_b32_e64 v19, v28, v19, s5
	v_cndmask_b32_e64 v28, 0, 1, s3
	;; [unrolled: 1-line block ×3, first 2 shown]
	v_cmp_eq_u32_e64 s1, 0x40f, v11
	v_lshl_or_b32 v28, v28, 9, 0x7c00
	s_wait_alu 0xf1ff
	s_delay_alu instid0(VALU_DEP_1) | instskip(SKIP_1) | instid1(VALU_DEP_2)
	v_cndmask_b32_e64 v11, v14, v28, s1
	v_and_b32_e32 v14, 7, v19
	v_and_or_b32 v11, 0x8000, v12, v11
	s_delay_alu instid0(VALU_DEP_2) | instskip(SKIP_4) | instid1(VALU_DEP_4)
	v_cmp_lt_i32_e64 s1, 5, v14
	v_cmp_eq_u32_e64 s3, 3, v14
	v_lshrrev_b32_e32 v14, 2, v19
	v_cndmask_b32_e64 v19, 0, 1, s4
	v_and_b32_e32 v11, 0xffff, v11
	s_or_b32 s1, s3, s1
	v_cmp_ne_u32_e64 s3, 0, v8
	s_wait_alu 0xfffe
	v_add_co_ci_u32_e64 v14, s1, 0, v14, s1
	v_cmp_gt_i32_e64 s1, 31, v4
	v_lshl_or_b32 v19, v19, 9, 0x7c00
	s_wait_alu 0xf1ff
	v_cndmask_b32_e64 v8, 0, 1, s3
	s_delay_alu instid0(VALU_DEP_3) | instskip(SKIP_2) | instid1(VALU_DEP_1)
	v_cndmask_b32_e64 v14, 0x7c00, v14, s1
	v_cmp_eq_u32_e64 s1, 0x40f, v4
	s_wait_alu 0xf1ff
	v_cndmask_b32_e64 v4, v14, v19, s1
	v_lshrrev_b32_e32 v14, 16, v16
	v_add_co_u32 v19, s1, v17, s14
	s_wait_alu 0xf1ff
	v_add_co_ci_u32_e64 v20, s1, s15, v18, s1
	s_delay_alu instid0(VALU_DEP_3) | instskip(NEXT) | instid1(VALU_DEP_1)
	v_and_or_b32 v4, 0x8000, v14, v4
	v_lshl_or_b32 v4, v4, 16, v11
	ds_load_2addr_b32 v[11:12], v75 offset0:16 offset1:76
	global_store_b32 v[17:18], v4, off
	s_wait_dscnt 0x0
	v_lshrrev_b32_e32 v29, 16, v11
	v_mul_f16_e32 v4, v43, v11
	s_delay_alu instid0(VALU_DEP_1) | instskip(NEXT) | instid1(VALU_DEP_1)
	v_fma_f16 v4, v157, v29, -v4
	v_cvt_f32_f16_e32 v4, v4
	s_delay_alu instid0(VALU_DEP_1) | instskip(NEXT) | instid1(VALU_DEP_1)
	v_cvt_f64_f32_e32 v[16:17], v4
	v_mul_f64_e32 v[16:17], s[10:11], v[16:17]
	s_delay_alu instid0(VALU_DEP_1) | instskip(SKIP_2) | instid1(VALU_DEP_3)
	v_and_or_b32 v4, 0x1ff, v17, v16
	v_lshrrev_b32_e32 v14, 8, v17
	v_bfe_u32 v16, v17, 20, 11
	v_cmp_ne_u32_e64 s1, 0, v4
	s_wait_alu 0xf1ff
	s_delay_alu instid0(VALU_DEP_1) | instskip(NEXT) | instid1(VALU_DEP_1)
	v_cndmask_b32_e64 v4, 0, 1, s1
	v_and_or_b32 v4, 0xffe, v14, v4
	v_sub_nc_u32_e32 v14, 0x3f1, v16
	v_add_nc_u32_e32 v16, 0xfffffc10, v16
	s_delay_alu instid0(VALU_DEP_3) | instskip(NEXT) | instid1(VALU_DEP_3)
	v_or_b32_e32 v18, 0x1000, v4
	v_med3_i32 v14, v14, 0, 13
	s_delay_alu instid0(VALU_DEP_1) | instskip(NEXT) | instid1(VALU_DEP_1)
	v_lshrrev_b32_e32 v28, v14, v18
	v_lshlrev_b32_e32 v14, v14, v28
	s_delay_alu instid0(VALU_DEP_1) | instskip(SKIP_1) | instid1(VALU_DEP_1)
	v_cmp_ne_u32_e64 s1, v14, v18
	v_lshrrev_b32_e32 v14, 8, v9
	v_and_or_b32 v8, 0xffe, v14, v8
	v_bfe_u32 v14, v9, 20, 11
	v_lshrrev_b32_e32 v9, 16, v9
	s_delay_alu instid0(VALU_DEP_3) | instskip(NEXT) | instid1(VALU_DEP_3)
	v_or_b32_e32 v33, 0x1000, v8
	v_sub_nc_u32_e32 v18, 0x3f1, v14
	v_add_nc_u32_e32 v14, 0xfffffc10, v14
	v_cmp_ne_u32_e64 s4, 0, v8
	s_delay_alu instid0(VALU_DEP_3) | instskip(NEXT) | instid1(VALU_DEP_1)
	v_med3_i32 v18, v18, 0, 13
	v_lshrrev_b32_e32 v34, v18, v33
	s_delay_alu instid0(VALU_DEP_1) | instskip(NEXT) | instid1(VALU_DEP_1)
	v_lshlrev_b32_e32 v18, v18, v34
	v_cmp_ne_u32_e64 s3, v18, v33
	v_lshl_or_b32 v33, v14, 12, v8
	s_wait_alu 0xf1ff
	s_delay_alu instid0(VALU_DEP_2) | instskip(SKIP_1) | instid1(VALU_DEP_2)
	v_cndmask_b32_e64 v18, 0, 1, s3
	v_cmp_gt_i32_e64 s3, 1, v14
	v_or_b32_e32 v18, v34, v18
	s_wait_alu 0xf1ff
	s_delay_alu instid0(VALU_DEP_1) | instskip(SKIP_2) | instid1(VALU_DEP_2)
	v_cndmask_b32_e64 v18, v33, v18, s3
	v_cndmask_b32_e64 v33, 0, 1, s2
	v_cmp_gt_i32_e64 s2, 1, v31
	v_or_b32_e32 v32, v32, v33
	v_lshl_or_b32 v33, v31, 12, v30
	s_wait_alu 0xf1ff
	s_delay_alu instid0(VALU_DEP_1) | instskip(SKIP_1) | instid1(VALU_DEP_2)
	v_cndmask_b32_e64 v32, v33, v32, s2
	v_and_b32_e32 v33, 7, v18
	v_and_b32_e32 v8, 7, v32
	s_delay_alu instid0(VALU_DEP_2) | instskip(SKIP_1) | instid1(VALU_DEP_3)
	v_cmp_lt_i32_e64 s2, 5, v33
	v_cmp_eq_u32_e64 s3, 3, v33
	v_cmp_lt_i32_e64 s5, 5, v8
	v_cmp_eq_u32_e64 s6, 3, v8
	v_lshrrev_b32_e32 v8, 2, v18
	s_delay_alu instid0(VALU_DEP_4) | instskip(SKIP_1) | instid1(VALU_DEP_3)
	s_or_b32 s2, s3, s2
	v_cndmask_b32_e64 v18, 0, 1, s4
	s_or_b32 s3, s6, s5
	s_wait_alu 0xfffe
	v_add_co_ci_u32_e64 v8, s2, 0, v8, s2
	v_cmp_gt_i32_e64 s2, 31, v14
	v_lshl_or_b32 v18, v18, 9, 0x7c00
	s_wait_alu 0xf1ff
	s_delay_alu instid0(VALU_DEP_2) | instskip(SKIP_3) | instid1(VALU_DEP_2)
	v_cndmask_b32_e64 v8, 0x7c00, v8, s2
	v_cmp_eq_u32_e64 s2, 0x40f, v14
	v_lshrrev_b32_e32 v14, 2, v32
	s_wait_alu 0xf1ff
	v_cndmask_b32_e64 v8, v8, v18, s2
	v_cmp_ne_u32_e64 s2, 0, v30
	s_delay_alu instid0(VALU_DEP_3) | instskip(SKIP_1) | instid1(VALU_DEP_4)
	v_add_co_ci_u32_e64 v14, s3, 0, v14, s3
	v_cmp_gt_i32_e64 s3, 31, v31
	v_and_or_b32 v8, 0x8000, v9, v8
	s_wait_alu 0xf1ff
	v_cndmask_b32_e64 v18, 0, 1, s2
	v_cmp_eq_u32_e64 s2, 0x40f, v31
	v_cndmask_b32_e64 v14, 0x7c00, v14, s3
	v_and_b32_e32 v8, 0xffff, v8
	s_delay_alu instid0(VALU_DEP_4) | instskip(SKIP_1) | instid1(VALU_DEP_1)
	v_lshl_or_b32 v18, v18, 9, 0x7c00
	s_wait_alu 0xf1ff
	v_cndmask_b32_e64 v14, v14, v18, s2
	v_add_co_u32 v34, s2, v19, s14
	s_wait_alu 0xf1ff
	v_add_co_ci_u32_e64 v35, s2, s15, v20, s2
	s_delay_alu instid0(VALU_DEP_3) | instskip(NEXT) | instid1(VALU_DEP_1)
	v_and_or_b32 v9, 0x8000, v13, v14
	v_lshl_or_b32 v8, v9, 16, v8
	global_store_b32 v[19:20], v8, off
	ds_load_2addr_b32 v[8:9], v75 offset0:136 offset1:232
	s_wait_dscnt 0x0
	v_lshrrev_b32_e32 v32, 16, v9
	v_mul_f16_e32 v13, v42, v9
	s_delay_alu instid0(VALU_DEP_1) | instskip(NEXT) | instid1(VALU_DEP_1)
	v_fma_f16 v13, v156, v32, -v13
	v_cvt_f32_f16_e32 v13, v13
	s_delay_alu instid0(VALU_DEP_1) | instskip(NEXT) | instid1(VALU_DEP_1)
	v_cvt_f64_f32_e32 v[13:14], v13
	v_mul_f64_e32 v[19:20], s[10:11], v[13:14]
	s_delay_alu instid0(VALU_DEP_1) | instskip(SKIP_2) | instid1(VALU_DEP_3)
	v_and_or_b32 v13, 0x1ff, v20, v19
	v_lshrrev_b32_e32 v14, 8, v20
	v_bfe_u32 v31, v20, 20, 11
	v_cmp_ne_u32_e64 s2, 0, v13
	s_wait_alu 0xf1ff
	s_delay_alu instid0(VALU_DEP_1) | instskip(NEXT) | instid1(VALU_DEP_1)
	v_cndmask_b32_e64 v13, 0, 1, s2
	v_and_or_b32 v30, 0xffe, v14, v13
	v_sub_nc_u32_e32 v13, 0x3f1, v31
	s_delay_alu instid0(VALU_DEP_2) | instskip(NEXT) | instid1(VALU_DEP_2)
	v_or_b32_e32 v14, 0x1000, v30
	v_med3_i32 v13, v13, 0, 13
	s_delay_alu instid0(VALU_DEP_1) | instskip(NEXT) | instid1(VALU_DEP_1)
	v_lshrrev_b32_e32 v33, v13, v14
	v_lshlrev_b32_e32 v13, v13, v33
	s_delay_alu instid0(VALU_DEP_1) | instskip(SKIP_4) | instid1(VALU_DEP_2)
	v_cmp_ne_u32_e64 s2, v13, v14
	ds_load_2addr_b32 v[13:14], v72 offset0:192 offset1:252
	s_wait_dscnt 0x0
	v_lshrrev_b32_e32 v18, 16, v13
	v_mul_f16_e32 v19, v36, v13
	v_mul_f16_e32 v36, v36, v18
	s_delay_alu instid0(VALU_DEP_2) | instskip(NEXT) | instid1(VALU_DEP_2)
	v_fma_f16 v38, v161, v18, -v19
	v_fmac_f16_e64 v36, v161, v13
	s_delay_alu instid0(VALU_DEP_1) | instskip(NEXT) | instid1(VALU_DEP_1)
	v_cvt_f32_f16_e32 v13, v36
	v_cvt_f64_f32_e32 v[18:19], v13
	s_delay_alu instid0(VALU_DEP_1) | instskip(NEXT) | instid1(VALU_DEP_1)
	v_mul_f64_e32 v[18:19], s[10:11], v[18:19]
	v_and_or_b32 v13, 0x1ff, v19, v18
	v_lshrrev_b32_e32 v18, 8, v19
	s_delay_alu instid0(VALU_DEP_2) | instskip(SKIP_1) | instid1(VALU_DEP_1)
	v_cmp_ne_u32_e64 s3, 0, v13
	s_wait_alu 0xf1ff
	v_cndmask_b32_e64 v13, 0, 1, s3
	s_delay_alu instid0(VALU_DEP_1) | instskip(SKIP_1) | instid1(VALU_DEP_2)
	v_and_or_b32 v13, 0xffe, v18, v13
	v_bfe_u32 v18, v19, 20, 11
	v_or_b32_e32 v37, 0x1000, v13
	s_delay_alu instid0(VALU_DEP_2) | instskip(SKIP_1) | instid1(VALU_DEP_2)
	v_sub_nc_u32_e32 v36, 0x3f1, v18
	v_add_nc_u32_e32 v18, 0xfffffc10, v18
	v_med3_i32 v36, v36, 0, 13
	s_delay_alu instid0(VALU_DEP_1) | instskip(NEXT) | instid1(VALU_DEP_1)
	v_lshrrev_b32_e32 v40, v36, v37
	v_lshlrev_b32_e32 v36, v36, v40
	s_delay_alu instid0(VALU_DEP_1) | instskip(SKIP_1) | instid1(VALU_DEP_1)
	v_cmp_ne_u32_e64 s3, v36, v37
	v_cvt_f64_f32_e32 v[36:37], v2
	v_mul_f64_e32 v[36:37], s[10:11], v[36:37]
	s_delay_alu instid0(VALU_DEP_1) | instskip(SKIP_1) | instid1(VALU_DEP_2)
	v_and_or_b32 v2, 0x1ff, v37, v36
	v_lshrrev_b32_e32 v6, 8, v37
	v_cmp_ne_u32_e64 s4, 0, v2
	s_wait_alu 0xf1ff
	s_delay_alu instid0(VALU_DEP_1) | instskip(NEXT) | instid1(VALU_DEP_1)
	v_cndmask_b32_e64 v2, 0, 1, s4
	v_and_or_b32 v2, 0xffe, v6, v2
	v_bfe_u32 v6, v37, 20, 11
	s_delay_alu instid0(VALU_DEP_2) | instskip(NEXT) | instid1(VALU_DEP_2)
	v_or_b32_e32 v39, 0x1000, v2
	v_sub_nc_u32_e32 v36, 0x3f1, v6
	v_add_nc_u32_e32 v6, 0xfffffc10, v6
	v_cmp_ne_u32_e64 s5, 0, v2
	s_delay_alu instid0(VALU_DEP_3) | instskip(NEXT) | instid1(VALU_DEP_1)
	v_med3_i32 v36, v36, 0, 13
	v_lshrrev_b32_e32 v41, v36, v39
	s_delay_alu instid0(VALU_DEP_1) | instskip(NEXT) | instid1(VALU_DEP_1)
	v_lshlrev_b32_e32 v36, v36, v41
	v_cmp_ne_u32_e64 s4, v36, v39
	v_lshl_or_b32 v39, v6, 12, v2
	s_wait_alu 0xf1ff
	s_delay_alu instid0(VALU_DEP_2) | instskip(SKIP_1) | instid1(VALU_DEP_2)
	v_cndmask_b32_e64 v36, 0, 1, s4
	v_cmp_gt_i32_e64 s4, 1, v6
	v_or_b32_e32 v36, v41, v36
	s_wait_alu 0xf1ff
	s_delay_alu instid0(VALU_DEP_1) | instskip(SKIP_2) | instid1(VALU_DEP_2)
	v_cndmask_b32_e64 v36, v39, v36, s4
	v_cndmask_b32_e64 v39, 0, 1, s0
	v_cmp_gt_i32_e64 s0, 1, v26
	v_or_b32_e32 v27, v27, v39
	v_lshl_or_b32 v39, v26, 12, v25
	v_cndmask_b32_e64 v25, 0, 1, s5
	s_wait_alu 0xf1ff
	s_delay_alu instid0(VALU_DEP_2) | instskip(SKIP_1) | instid1(VALU_DEP_3)
	v_cndmask_b32_e64 v27, v39, v27, s0
	v_and_b32_e32 v39, 7, v36
	v_lshl_or_b32 v25, v25, 9, 0x7c00
	s_delay_alu instid0(VALU_DEP_3) | instskip(NEXT) | instid1(VALU_DEP_3)
	v_and_b32_e32 v2, 7, v27
	v_cmp_lt_i32_e64 s0, 5, v39
	v_cmp_eq_u32_e64 s4, 3, v39
	s_delay_alu instid0(VALU_DEP_3) | instskip(SKIP_2) | instid1(VALU_DEP_4)
	v_cmp_lt_i32_e64 s6, 5, v2
	v_cmp_eq_u32_e64 s7, 3, v2
	v_lshrrev_b32_e32 v2, 2, v36
	s_or_b32 s0, s4, s0
	s_wait_alu 0xfffe
	s_delay_alu instid0(VALU_DEP_1) | instskip(SKIP_2) | instid1(VALU_DEP_1)
	v_add_co_ci_u32_e64 v2, s0, 0, v2, s0
	v_cmp_gt_i32_e64 s0, 31, v6
	s_wait_alu 0xf1ff
	v_cndmask_b32_e64 v2, 0x7c00, v2, s0
	v_cmp_eq_u32_e64 s0, 0x40f, v6
	v_lshrrev_b32_e32 v6, 16, v37
	s_wait_alu 0xf1ff
	s_delay_alu instid0(VALU_DEP_2) | instskip(SKIP_3) | instid1(VALU_DEP_3)
	v_cndmask_b32_e64 v2, v2, v25, s0
	v_lshrrev_b32_e32 v25, 2, v27
	s_or_b32 s0, s7, s6
	v_cndmask_b32_e64 v27, 0, 1, s8
	v_and_or_b32 v2, 0x8000, v6, v2
	s_wait_alu 0xfffe
	v_add_co_ci_u32_e64 v25, s0, 0, v25, s0
	v_cmp_gt_i32_e64 s0, 31, v26
	v_lshl_or_b32 v27, v27, 9, 0x7c00
	v_and_b32_e32 v2, 0xffff, v2
	s_wait_alu 0xf1ff
	s_delay_alu instid0(VALU_DEP_3) | instskip(SKIP_2) | instid1(VALU_DEP_1)
	v_cndmask_b32_e64 v25, 0x7c00, v25, s0
	v_cmp_eq_u32_e64 s0, 0x40f, v26
	s_wait_alu 0xf1ff
	v_cndmask_b32_e64 v25, v25, v27, s0
	s_delay_alu instid0(VALU_DEP_1) | instskip(SKIP_3) | instid1(VALU_DEP_3)
	v_and_or_b32 v6, 0x8000, v15, v25
	v_add_co_u32 v25, s0, v34, s14
	s_wait_alu 0xf1ff
	v_add_co_ci_u32_e64 v26, s0, s15, v35, s0
	v_lshl_or_b32 v2, v6, 16, v2
	global_store_b32 v[34:35], v2, off
	v_cvt_f32_f16_e32 v2, v38
	s_delay_alu instid0(VALU_DEP_1) | instskip(NEXT) | instid1(VALU_DEP_1)
	v_cvt_f64_f32_e32 v[34:35], v2
	v_mul_f64_e32 v[34:35], s[10:11], v[34:35]
	s_delay_alu instid0(VALU_DEP_1) | instskip(SKIP_2) | instid1(VALU_DEP_3)
	v_and_or_b32 v2, 0x1ff, v35, v34
	v_lshrrev_b32_e32 v6, 8, v35
	v_bfe_u32 v34, v35, 20, 11
	v_cmp_ne_u32_e64 s0, 0, v2
	s_wait_alu 0xf1ff
	s_delay_alu instid0(VALU_DEP_1) | instskip(NEXT) | instid1(VALU_DEP_1)
	v_cndmask_b32_e64 v2, 0, 1, s0
	v_and_or_b32 v6, 0xffe, v6, v2
	v_sub_nc_u32_e32 v2, 0x3f1, v34
	s_delay_alu instid0(VALU_DEP_2) | instskip(NEXT) | instid1(VALU_DEP_2)
	v_or_b32_e32 v15, 0x1000, v6
	v_med3_i32 v2, v2, 0, 13
	s_delay_alu instid0(VALU_DEP_1) | instskip(NEXT) | instid1(VALU_DEP_1)
	v_lshrrev_b32_e32 v41, v2, v15
	v_lshlrev_b32_e32 v2, v2, v41
	s_delay_alu instid0(VALU_DEP_1) | instskip(SKIP_3) | instid1(VALU_DEP_1)
	v_cmp_ne_u32_e64 s0, v2, v15
	scratch_load_b32 v15, off, off offset:172 th:TH_LOAD_LU ; 4-byte Folded Reload
	s_wait_loadcnt 0x0
	v_mad_co_u64_u32 v[36:37], null, s12, v15, 0
	v_mov_b32_e32 v2, v37
	s_delay_alu instid0(VALU_DEP_1) | instskip(SKIP_1) | instid1(VALU_DEP_1)
	v_mad_co_u64_u32 v[37:38], null, s13, v15, v[2:3]
	v_mul_f16_e32 v2, v43, v29
	v_fmac_f16_e64 v2, v157, v11
	s_delay_alu instid0(VALU_DEP_1) | instskip(NEXT) | instid1(VALU_DEP_1)
	v_cvt_f32_f16_e32 v2, v2
	v_cvt_f64_f32_e32 v[38:39], v2
	s_delay_alu instid0(VALU_DEP_1) | instskip(NEXT) | instid1(VALU_DEP_1)
	v_mul_f64_e32 v[38:39], s[10:11], v[38:39]
	v_and_or_b32 v2, 0x1ff, v39, v38
	v_lshrrev_b32_e32 v11, 8, v39
	s_delay_alu instid0(VALU_DEP_2) | instskip(SKIP_1) | instid1(VALU_DEP_1)
	v_cmp_ne_u32_e64 s4, 0, v2
	s_wait_alu 0xf1ff
	v_cndmask_b32_e64 v2, 0, 1, s4
	s_delay_alu instid0(VALU_DEP_1) | instskip(SKIP_1) | instid1(VALU_DEP_2)
	v_and_or_b32 v2, 0xffe, v11, v2
	v_bfe_u32 v11, v39, 20, 11
	v_or_b32_e32 v27, 0x1000, v2
	s_delay_alu instid0(VALU_DEP_2) | instskip(SKIP_2) | instid1(VALU_DEP_3)
	v_sub_nc_u32_e32 v15, 0x3f1, v11
	v_add_nc_u32_e32 v11, 0xfffffc10, v11
	v_cmp_ne_u32_e64 s6, 0, v2
	v_med3_i32 v15, v15, 0, 13
	s_delay_alu instid0(VALU_DEP_1) | instskip(NEXT) | instid1(VALU_DEP_1)
	v_lshrrev_b32_e32 v29, v15, v27
	v_lshlrev_b32_e32 v15, v15, v29
	s_delay_alu instid0(VALU_DEP_1)
	v_cmp_ne_u32_e64 s4, v15, v27
	v_lshl_or_b32 v27, v11, 12, v2
	v_cndmask_b32_e64 v2, 0, 1, s1
	v_cmp_gt_i32_e64 s1, 1, v16
	s_wait_alu 0xf1ff
	v_cndmask_b32_e64 v15, 0, 1, s4
	v_cmp_gt_i32_e64 s4, 1, v11
	v_or_b32_e32 v2, v28, v2
	s_delay_alu instid0(VALU_DEP_3) | instskip(SKIP_1) | instid1(VALU_DEP_1)
	v_or_b32_e32 v15, v29, v15
	s_wait_alu 0xf1ff
	v_cndmask_b32_e64 v15, v27, v15, s4
	s_delay_alu instid0(VALU_DEP_1) | instskip(SKIP_1) | instid1(VALU_DEP_2)
	v_and_b32_e32 v27, 7, v15
	v_lshrrev_b32_e32 v15, 2, v15
	v_cmp_lt_i32_e64 s4, 5, v27
	v_cmp_eq_u32_e64 s5, 3, v27
	v_lshl_or_b32 v27, v16, 12, v4
	s_delay_alu instid0(VALU_DEP_1) | instskip(NEXT) | instid1(VALU_DEP_3)
	v_cndmask_b32_e64 v2, v27, v2, s1
	s_or_b32 s1, s5, s4
	v_cndmask_b32_e64 v27, 0, 1, s6
	s_wait_alu 0xfffe
	v_add_co_ci_u32_e64 v15, s1, 0, v15, s1
	v_cmp_gt_i32_e64 s1, 31, v11
	v_cmp_ne_u32_e64 s5, 0, v4
	v_lshl_or_b32 v27, v27, 9, 0x7c00
	s_wait_alu 0xf1ff
	s_delay_alu instid0(VALU_DEP_3) | instskip(SKIP_3) | instid1(VALU_DEP_2)
	v_cndmask_b32_e64 v15, 0x7c00, v15, s1
	v_cmp_eq_u32_e64 s1, 0x40f, v11
	v_cndmask_b32_e64 v4, 0, 1, s5
	s_wait_alu 0xf1ff
	v_cndmask_b32_e64 v11, v15, v27, s1
	v_and_b32_e32 v27, 7, v2
	v_lshrrev_b32_e32 v2, 2, v2
	v_lshrrev_b32_e32 v15, 16, v39
	v_lshl_or_b32 v4, v4, 9, 0x7c00
	s_delay_alu instid0(VALU_DEP_4) | instskip(SKIP_1) | instid1(VALU_DEP_4)
	v_cmp_lt_i32_e64 s1, 5, v27
	v_cmp_eq_u32_e64 s4, 3, v27
	v_and_or_b32 v11, 0x8000, v15, v11
	s_delay_alu instid0(VALU_DEP_2) | instskip(SKIP_4) | instid1(VALU_DEP_1)
	s_or_b32 s1, s4, s1
	s_wait_alu 0xfffe
	v_add_co_ci_u32_e64 v2, s1, 0, v2, s1
	v_cmp_gt_i32_e64 s1, 31, v16
	s_wait_alu 0xf1ff
	v_cndmask_b32_e64 v2, 0x7c00, v2, s1
	v_cmp_eq_u32_e64 s1, 0x40f, v16
	s_wait_alu 0xf1ff
	s_delay_alu instid0(VALU_DEP_1) | instskip(SKIP_4) | instid1(VALU_DEP_3)
	v_cndmask_b32_e64 v2, v2, v4, s1
	v_lshrrev_b32_e32 v4, 16, v17
	v_add_co_u32 v15, s1, v25, s14
	s_wait_alu 0xf1ff
	v_add_co_ci_u32_e64 v16, s1, s15, v26, s1
	v_and_or_b32 v2, 0x8000, v4, v2
	v_and_b32_e32 v4, 0xffff, v11
	s_delay_alu instid0(VALU_DEP_1) | instskip(SKIP_3) | instid1(VALU_DEP_2)
	v_lshl_or_b32 v2, v2, 16, v4
	global_store_b32 v[25:26], v2, off
	v_mul_f16_e32 v2, v42, v32
	v_lshlrev_b64_e32 v[25:26], 2, v[36:37]
	v_fmac_f16_e64 v2, v156, v9
	s_delay_alu instid0(VALU_DEP_2) | instskip(SKIP_1) | instid1(VALU_DEP_3)
	v_add_co_u32 v25, s1, v23, v25
	s_wait_alu 0xf1ff
	v_add_co_ci_u32_e64 v26, s1, v24, v26, s1
	s_delay_alu instid0(VALU_DEP_3) | instskip(NEXT) | instid1(VALU_DEP_1)
	v_cvt_f32_f16_e32 v2, v2
	v_cvt_f64_f32_e32 v[27:28], v2
	s_delay_alu instid0(VALU_DEP_1) | instskip(NEXT) | instid1(VALU_DEP_1)
	v_mul_f64_e32 v[27:28], s[10:11], v[27:28]
	v_and_or_b32 v2, 0x1ff, v28, v27
	v_lshrrev_b32_e32 v4, 8, v28
	s_delay_alu instid0(VALU_DEP_2) | instskip(SKIP_1) | instid1(VALU_DEP_1)
	v_cmp_ne_u32_e64 s1, 0, v2
	s_wait_alu 0xf1ff
	v_cndmask_b32_e64 v2, 0, 1, s1
	s_delay_alu instid0(VALU_DEP_1) | instskip(SKIP_1) | instid1(VALU_DEP_2)
	v_and_or_b32 v2, 0xffe, v4, v2
	v_bfe_u32 v4, v28, 20, 11
	v_or_b32_e32 v11, 0x1000, v2
	s_delay_alu instid0(VALU_DEP_2) | instskip(SKIP_2) | instid1(VALU_DEP_3)
	v_sub_nc_u32_e32 v9, 0x3f1, v4
	v_add_nc_u32_e32 v4, 0xfffffc10, v4
	v_cmp_ne_u32_e64 s5, 0, v2
	v_med3_i32 v9, v9, 0, 13
	s_delay_alu instid0(VALU_DEP_1) | instskip(NEXT) | instid1(VALU_DEP_1)
	v_lshrrev_b32_e32 v17, v9, v11
	v_lshlrev_b32_e32 v9, v9, v17
	s_delay_alu instid0(VALU_DEP_1) | instskip(SKIP_3) | instid1(VALU_DEP_3)
	v_cmp_ne_u32_e64 s1, v9, v11
	v_lshl_or_b32 v11, v4, 12, v2
	v_cndmask_b32_e64 v2, 0, 1, s2
	s_wait_alu 0xf1ff
	v_cndmask_b32_e64 v9, 0, 1, s1
	v_cmp_gt_i32_e64 s1, 1, v4
	s_delay_alu instid0(VALU_DEP_3) | instskip(NEXT) | instid1(VALU_DEP_3)
	v_or_b32_e32 v2, v33, v2
	v_or_b32_e32 v9, v17, v9
	s_wait_alu 0xf1ff
	s_delay_alu instid0(VALU_DEP_1) | instskip(NEXT) | instid1(VALU_DEP_1)
	v_cndmask_b32_e64 v9, v11, v9, s1
	v_and_b32_e32 v11, 7, v9
	v_lshrrev_b32_e32 v9, 2, v9
	s_delay_alu instid0(VALU_DEP_2) | instskip(SKIP_2) | instid1(VALU_DEP_2)
	v_cmp_lt_i32_e64 s1, 5, v11
	v_cmp_eq_u32_e64 s4, 3, v11
	v_add_nc_u32_e32 v11, 0xfffffc10, v31
	s_or_b32 s1, s4, s1
	s_delay_alu instid0(VALU_DEP_1)
	v_lshl_or_b32 v17, v11, 12, v30
	v_cmp_gt_i32_e64 s2, 1, v11
	s_wait_alu 0xfffe
	v_add_co_ci_u32_e64 v9, s1, 0, v9, s1
	v_cmp_gt_i32_e64 s1, 31, v4
	v_cmp_ne_u32_e64 s4, 0, v30
	s_wait_alu 0xf1ff
	v_cndmask_b32_e64 v2, v17, v2, s2
	v_cndmask_b32_e64 v17, 0, 1, s5
	;; [unrolled: 1-line block ×3, first 2 shown]
	v_cmp_eq_u32_e64 s1, 0x40f, v4
	v_cndmask_b32_e64 v27, 0, 1, s4
	s_delay_alu instid0(VALU_DEP_4) | instskip(NEXT) | instid1(VALU_DEP_2)
	v_lshl_or_b32 v17, v17, 9, 0x7c00
	v_lshl_or_b32 v27, v27, 9, 0x7c00
	s_wait_alu 0xf1ff
	s_delay_alu instid0(VALU_DEP_2) | instskip(SKIP_3) | instid1(VALU_DEP_3)
	v_cndmask_b32_e64 v4, v9, v17, s1
	v_and_b32_e32 v17, 7, v2
	v_lshrrev_b32_e32 v2, 2, v2
	v_lshrrev_b32_e32 v9, 16, v28
	v_cmp_lt_i32_e64 s1, 5, v17
	v_cmp_eq_u32_e64 s2, 3, v17
	v_cndmask_b32_e64 v17, 0, 1, s3
	s_delay_alu instid0(VALU_DEP_4) | instskip(NEXT) | instid1(VALU_DEP_3)
	v_and_or_b32 v4, 0x8000, v9, v4
	s_or_b32 s1, s2, s1
	s_delay_alu instid0(VALU_DEP_2)
	v_or_b32_e32 v17, v40, v17
	s_wait_alu 0xfffe
	v_add_co_ci_u32_e64 v2, s1, 0, v2, s1
	v_cmp_gt_i32_e64 s1, 31, v11
	v_and_b32_e32 v4, 0xffff, v4
	s_wait_alu 0xf1ff
	s_delay_alu instid0(VALU_DEP_2) | instskip(SKIP_4) | instid1(VALU_DEP_3)
	v_cndmask_b32_e64 v2, 0x7c00, v2, s1
	v_cmp_eq_u32_e64 s1, 0x40f, v11
	v_lshrrev_b32_e32 v11, 16, v20
	v_lshl_or_b32 v20, v18, 12, v13
	s_wait_alu 0xf1ff
	v_cndmask_b32_e64 v2, v2, v27, s1
	v_cmp_gt_i32_e64 s1, 1, v18
	s_delay_alu instid0(VALU_DEP_2) | instskip(SKIP_1) | instid1(VALU_DEP_2)
	v_and_or_b32 v2, 0x8000, v11, v2
	s_wait_alu 0xf1ff
	v_cndmask_b32_e64 v17, v20, v17, s1
	v_add_nc_u32_e32 v11, 0xfffffc10, v34
	s_delay_alu instid0(VALU_DEP_3) | instskip(NEXT) | instid1(VALU_DEP_3)
	v_lshl_or_b32 v2, v2, 16, v4
	v_and_b32_e32 v9, 7, v17
	s_delay_alu instid0(VALU_DEP_3) | instskip(NEXT) | instid1(VALU_DEP_2)
	v_cmp_gt_i32_e64 s3, 1, v11
	v_cmp_lt_i32_e64 s1, 5, v9
	v_cmp_eq_u32_e64 s2, 3, v9
	v_cndmask_b32_e64 v9, 0, 1, s0
	v_cmp_ne_u32_e64 s0, 0, v13
	v_lshl_or_b32 v13, v11, 12, v6
	s_delay_alu instid0(VALU_DEP_4) | instskip(NEXT) | instid1(VALU_DEP_3)
	s_or_b32 s1, s2, s1
	v_or_b32_e32 v9, v41, v9
	v_cmp_ne_u32_e64 s2, 0, v6
	s_delay_alu instid0(VALU_DEP_2) | instskip(SKIP_4) | instid1(VALU_DEP_3)
	v_cndmask_b32_e64 v9, v13, v9, s3
	v_lshrrev_b32_e32 v13, 2, v17
	v_cndmask_b32_e64 v17, 0, 1, s0
	v_cmp_eq_u32_e64 s0, 0x40f, v18
	s_wait_alu 0xfffe
	v_add_co_ci_u32_e64 v13, s1, 0, v13, s1
	v_cmp_gt_i32_e64 s1, 31, v18
	v_lshl_or_b32 v17, v17, 9, 0x7c00
	v_and_b32_e32 v18, 7, v9
	v_lshrrev_b32_e32 v9, 2, v9
	s_wait_alu 0xf1ff
	v_cndmask_b32_e64 v13, 0x7c00, v13, s1
	s_delay_alu instid0(VALU_DEP_3) | instskip(NEXT) | instid1(VALU_DEP_2)
	v_cmp_eq_u32_e64 s1, 3, v18
	v_cndmask_b32_e64 v13, v13, v17, s0
	v_cmp_lt_i32_e64 s0, 5, v18
	v_lshrrev_b32_e32 v17, 16, v19
	s_delay_alu instid0(VALU_DEP_2) | instskip(NEXT) | instid1(VALU_DEP_1)
	s_or_b32 s0, s1, s0
	v_and_or_b32 v6, 0x8000, v17, v13
	s_wait_alu 0xfffe
	v_add_co_ci_u32_e64 v9, s0, 0, v9, s0
	v_cmp_gt_i32_e64 s0, 31, v11
	v_cndmask_b32_e64 v13, 0, 1, s2
	v_and_b32_e32 v6, 0xffff, v6
	s_wait_alu 0xf1ff
	s_delay_alu instid0(VALU_DEP_3) | instskip(NEXT) | instid1(VALU_DEP_3)
	v_cndmask_b32_e64 v9, 0x7c00, v9, s0
	v_lshl_or_b32 v13, v13, 9, 0x7c00
	v_cmp_eq_u32_e64 s0, 0x40f, v11
	v_lshrrev_b32_e32 v11, 16, v35
	s_wait_alu 0xf1ff
	s_delay_alu instid0(VALU_DEP_2) | instskip(NEXT) | instid1(VALU_DEP_1)
	v_cndmask_b32_e64 v9, v9, v13, s0
	v_and_or_b32 v4, 0x8000, v11, v9
	s_delay_alu instid0(VALU_DEP_1)
	v_lshl_or_b32 v4, v4, 16, v6
	global_store_b32 v[15:16], v2, off
	global_store_b32 v[25:26], v4, off
	s_clause 0x6
	scratch_load_b32 v4, off, off offset:156 th:TH_LOAD_LU
	scratch_load_b32 v36, off, off offset:160 th:TH_LOAD_LU
	;; [unrolled: 1-line block ×7, first 2 shown]
	s_wait_loadcnt 0x6
	v_mad_co_u64_u32 v[17:18], null, s12, v4, 0
	s_delay_alu instid0(VALU_DEP_1) | instskip(NEXT) | instid1(VALU_DEP_1)
	v_mov_b32_e32 v2, v18
	v_mad_co_u64_u32 v[18:19], null, s13, v4, v[2:3]
	scratch_load_b32 v4, off, off offset:168 th:TH_LOAD_LU ; 4-byte Folded Reload
	v_lshrrev_b32_e32 v2, 16, v5
	v_lshlrev_b64_e32 v[17:18], 2, v[17:18]
	s_delay_alu instid0(VALU_DEP_1) | instskip(SKIP_1) | instid1(VALU_DEP_2)
	v_add_co_u32 v17, s0, v23, v17
	s_wait_alu 0xf1ff
	v_add_co_ci_u32_e64 v18, s0, v24, v18, s0
	s_wait_loadcnt 0x0
	v_mul_f16_e32 v9, v4, v2
	v_mul_f16_e32 v4, v4, v5
	s_delay_alu instid0(VALU_DEP_2) | instskip(NEXT) | instid1(VALU_DEP_2)
	v_fmac_f16_e32 v9, v6, v5
	v_fma_f16 v2, v6, v2, -v4
	ds_load_2addr_b32 v[4:5], v22 offset0:56 offset1:152
	v_cvt_f32_f16_e32 v9, v9
	v_cvt_f32_f16_e32 v2, v2
	s_wait_dscnt 0x0
	v_lshrrev_b32_e32 v11, 16, v5
	v_mul_f16_e32 v6, v36, v5
	s_delay_alu instid0(VALU_DEP_1) | instskip(NEXT) | instid1(VALU_DEP_1)
	v_fma_f16 v6, v35, v11, -v6
	v_cvt_f32_f16_e32 v6, v6
	s_delay_alu instid0(VALU_DEP_1) | instskip(NEXT) | instid1(VALU_DEP_1)
	v_cvt_f64_f32_e32 v[19:20], v6
	v_mul_f64_e32 v[22:23], s[10:11], v[19:20]
	s_delay_alu instid0(VALU_DEP_1) | instskip(SKIP_2) | instid1(VALU_DEP_3)
	v_and_or_b32 v6, 0x1ff, v23, v22
	v_lshrrev_b32_e32 v13, 8, v23
	v_bfe_u32 v22, v23, 20, 11
	v_cmp_ne_u32_e64 s0, 0, v6
	s_wait_alu 0xf1ff
	s_delay_alu instid0(VALU_DEP_1) | instskip(NEXT) | instid1(VALU_DEP_1)
	v_cndmask_b32_e64 v6, 0, 1, s0
	v_and_or_b32 v13, 0xffe, v13, v6
	v_sub_nc_u32_e32 v6, 0x3f1, v22
	v_add_nc_u32_e32 v22, 0xfffffc10, v22
	s_delay_alu instid0(VALU_DEP_3) | instskip(NEXT) | instid1(VALU_DEP_3)
	v_or_b32_e32 v19, 0x1000, v13
	v_med3_i32 v6, v6, 0, 13
	s_delay_alu instid0(VALU_DEP_1) | instskip(NEXT) | instid1(VALU_DEP_1)
	v_lshrrev_b32_e32 v26, v6, v19
	v_lshlrev_b32_e32 v6, v6, v26
	s_delay_alu instid0(VALU_DEP_1) | instskip(SKIP_1) | instid1(VALU_DEP_1)
	v_cmp_ne_u32_e64 s0, v6, v19
	v_cvt_f64_f32_e32 v[19:20], v2
	v_mul_f64_e32 v[24:25], s[10:11], v[19:20]
	scratch_load_b32 v20, off, off offset:140 th:TH_LOAD_LU ; 4-byte Folded Reload
	v_and_or_b32 v2, 0x1ff, v25, v24
	v_lshrrev_b32_e32 v6, 8, v25
	v_bfe_u32 v24, v25, 20, 11
	s_delay_alu instid0(VALU_DEP_3) | instskip(SKIP_1) | instid1(VALU_DEP_1)
	v_cmp_ne_u32_e64 s1, 0, v2
	s_wait_alu 0xf1ff
	v_cndmask_b32_e64 v2, 0, 1, s1
	s_delay_alu instid0(VALU_DEP_1) | instskip(SKIP_1) | instid1(VALU_DEP_2)
	v_and_or_b32 v2, 0xffe, v6, v2
	v_sub_nc_u32_e32 v6, 0x3f1, v24
	v_or_b32_e32 v19, 0x1000, v2
	s_delay_alu instid0(VALU_DEP_2) | instskip(NEXT) | instid1(VALU_DEP_1)
	v_med3_i32 v6, v6, 0, 13
	v_lshrrev_b32_e32 v27, v6, v19
	s_delay_alu instid0(VALU_DEP_1) | instskip(NEXT) | instid1(VALU_DEP_1)
	v_lshlrev_b32_e32 v6, v6, v27
	v_cmp_ne_u32_e64 s2, v6, v19
	scratch_load_b32 v19, off, off offset:164 th:TH_LOAD_LU ; 4-byte Folded Reload
	v_lshrrev_b32_e32 v6, 16, v7
	s_wait_loadcnt 0x0
	s_delay_alu instid0(VALU_DEP_1) | instskip(SKIP_1) | instid1(VALU_DEP_2)
	v_mul_f16_e32 v28, v19, v6
	v_mul_f16_e32 v19, v19, v7
	v_fmac_f16_e32 v28, v20, v7
	s_delay_alu instid0(VALU_DEP_2) | instskip(SKIP_4) | instid1(VALU_DEP_1)
	v_fma_f16 v29, v20, v6, -v19
	ds_load_2addr_b32 v[19:20], v74 offset0:20 offset1:80
	s_wait_dscnt 0x0
	v_lshrrev_b32_e32 v30, 16, v19
	v_mul_f16_e32 v6, v39, v19
	v_fma_f16 v6, v37, v30, -v6
	s_delay_alu instid0(VALU_DEP_1) | instskip(NEXT) | instid1(VALU_DEP_1)
	v_cvt_f32_f16_e32 v6, v6
	v_cvt_f64_f32_e32 v[6:7], v6
	s_delay_alu instid0(VALU_DEP_1) | instskip(NEXT) | instid1(VALU_DEP_1)
	v_mul_f64_e32 v[6:7], s[10:11], v[6:7]
	v_and_or_b32 v6, 0x1ff, v7, v6
	v_lshrrev_b32_e32 v31, 8, v7
	v_bfe_u32 v32, v7, 20, 11
	v_lshrrev_b32_e32 v7, 16, v7
	s_delay_alu instid0(VALU_DEP_4) | instskip(SKIP_1) | instid1(VALU_DEP_1)
	v_cmp_ne_u32_e64 s1, 0, v6
	s_wait_alu 0xf1ff
	v_cndmask_b32_e64 v6, 0, 1, s1
	s_delay_alu instid0(VALU_DEP_1) | instskip(SKIP_1) | instid1(VALU_DEP_2)
	v_and_or_b32 v31, 0xffe, v31, v6
	v_sub_nc_u32_e32 v6, 0x3f1, v32
	v_or_b32_e32 v33, 0x1000, v31
	s_delay_alu instid0(VALU_DEP_2) | instskip(NEXT) | instid1(VALU_DEP_1)
	v_med3_i32 v6, v6, 0, 13
	v_lshrrev_b32_e32 v34, v6, v33
	s_delay_alu instid0(VALU_DEP_1) | instskip(NEXT) | instid1(VALU_DEP_1)
	v_lshlrev_b32_e32 v6, v6, v34
	v_cmp_ne_u32_e64 s1, v6, v33
	v_mul_f16_e32 v6, v36, v11
	s_delay_alu instid0(VALU_DEP_1) | instskip(NEXT) | instid1(VALU_DEP_1)
	v_fmac_f16_e32 v6, v35, v5
	v_cvt_f32_f16_e32 v5, v6
	s_delay_alu instid0(VALU_DEP_1) | instskip(NEXT) | instid1(VALU_DEP_1)
	v_cvt_f64_f32_e32 v[5:6], v5
	v_mul_f64_e32 v[5:6], s[10:11], v[5:6]
	s_delay_alu instid0(VALU_DEP_1) | instskip(SKIP_1) | instid1(VALU_DEP_2)
	v_and_or_b32 v5, 0x1ff, v6, v5
	v_lshrrev_b32_e32 v11, 8, v6
	v_cmp_ne_u32_e64 s3, 0, v5
	s_wait_alu 0xf1ff
	s_delay_alu instid0(VALU_DEP_1) | instskip(NEXT) | instid1(VALU_DEP_1)
	v_cndmask_b32_e64 v5, 0, 1, s3
	v_and_or_b32 v5, 0xffe, v11, v5
	v_bfe_u32 v11, v6, 20, 11
	v_lshrrev_b32_e32 v6, 16, v6
	s_delay_alu instid0(VALU_DEP_3) | instskip(NEXT) | instid1(VALU_DEP_3)
	v_or_b32_e32 v35, 0x1000, v5
	v_sub_nc_u32_e32 v33, 0x3f1, v11
	v_add_nc_u32_e32 v11, 0xfffffc10, v11
	v_cmp_ne_u32_e64 s5, 0, v5
	s_delay_alu instid0(VALU_DEP_3) | instskip(NEXT) | instid1(VALU_DEP_1)
	v_med3_i32 v33, v33, 0, 13
	v_lshrrev_b32_e32 v36, v33, v35
	s_delay_alu instid0(VALU_DEP_1) | instskip(NEXT) | instid1(VALU_DEP_1)
	v_lshlrev_b32_e32 v33, v33, v36
	v_cmp_ne_u32_e64 s3, v33, v35
	v_lshl_or_b32 v35, v11, 12, v5
	v_cndmask_b32_e64 v5, 0, 1, s0
	v_cmp_gt_i32_e64 s0, 1, v22
	s_wait_alu 0xf1ff
	v_cndmask_b32_e64 v33, 0, 1, s3
	v_cmp_gt_i32_e64 s3, 1, v11
	v_or_b32_e32 v5, v26, v5
	v_lshl_or_b32 v26, v22, 12, v13
	s_delay_alu instid0(VALU_DEP_4) | instskip(NEXT) | instid1(VALU_DEP_2)
	v_or_b32_e32 v33, v36, v33
	v_cndmask_b32_e64 v5, v26, v5, s0
	s_wait_alu 0xf1ff
	s_delay_alu instid0(VALU_DEP_2) | instskip(NEXT) | instid1(VALU_DEP_1)
	v_cndmask_b32_e64 v33, v35, v33, s3
	v_and_b32_e32 v35, 7, v33
	v_lshrrev_b32_e32 v26, 2, v33
	v_cndmask_b32_e64 v33, 0, 1, s5
	s_delay_alu instid0(VALU_DEP_3) | instskip(SKIP_1) | instid1(VALU_DEP_3)
	v_cmp_lt_i32_e64 s3, 5, v35
	v_cmp_eq_u32_e64 s4, 3, v35
	v_lshl_or_b32 v33, v33, 9, 0x7c00
	s_delay_alu instid0(VALU_DEP_2)
	s_or_b32 s0, s4, s3
	v_cmp_ne_u32_e64 s4, 0, v13
	s_wait_alu 0xfffe
	v_add_co_ci_u32_e64 v26, s0, 0, v26, s0
	v_cmp_gt_i32_e64 s0, 31, v11
	s_wait_alu 0xf1ff
	v_cndmask_b32_e64 v13, 0, 1, s4
	s_movk_i32 s4, 0xf8a4
	s_mov_b32 s5, -1
	v_cndmask_b32_e64 v26, 0x7c00, v26, s0
	v_cmp_eq_u32_e64 s0, 0x40f, v11
	v_lshl_or_b32 v13, v13, 9, 0x7c00
	s_wait_alu 0xfffe
	s_mul_u64 s[4:5], s[12:13], s[4:5]
	s_wait_alu 0xfffe
	s_lshl_b64 s[16:17], s[4:5], 2
	v_cndmask_b32_e64 v11, v26, v33, s0
	v_and_b32_e32 v26, 7, v5
	v_lshrrev_b32_e32 v5, 2, v5
	s_delay_alu instid0(VALU_DEP_3) | instskip(NEXT) | instid1(VALU_DEP_3)
	v_and_or_b32 v6, 0x8000, v6, v11
	v_cmp_lt_i32_e64 s0, 5, v26
	v_cmp_eq_u32_e64 s3, 3, v26
	s_delay_alu instid0(VALU_DEP_3) | instskip(NEXT) | instid1(VALU_DEP_2)
	v_and_b32_e32 v6, 0xffff, v6
	s_or_b32 s0, s3, s0
	s_wait_alu 0xfffe
	v_add_co_ci_u32_e64 v5, s0, 0, v5, s0
	v_cmp_gt_i32_e64 s0, 31, v22
	s_wait_alu 0xf1ff
	s_delay_alu instid0(VALU_DEP_1) | instskip(SKIP_2) | instid1(VALU_DEP_1)
	v_cndmask_b32_e64 v5, 0x7c00, v5, s0
	v_cmp_eq_u32_e64 s0, 0x40f, v22
	s_wait_alu 0xf1ff
	v_cndmask_b32_e64 v5, v5, v13, s0
	v_lshrrev_b32_e32 v13, 16, v23
	s_delay_alu instid0(VALU_DEP_1) | instskip(NEXT) | instid1(VALU_DEP_1)
	v_and_or_b32 v5, 0x8000, v13, v5
	v_lshl_or_b32 v11, v5, 16, v6
	v_mad_co_u64_u32 v[5:6], null, 0x6c0, s12, v[15:16]
	s_delay_alu instid0(VALU_DEP_1)
	v_add_nc_u32_e32 v6, s9, v6
	global_store_b32 v[5:6], v11, off
	v_cvt_f32_f16_e32 v11, v29
	v_add_co_u32 v5, s0, v5, s16
	s_wait_alu 0xf1ff
	v_add_co_ci_u32_e64 v6, s0, s17, v6, s0
	s_delay_alu instid0(VALU_DEP_3) | instskip(NEXT) | instid1(VALU_DEP_1)
	v_cvt_f64_f32_e32 v[15:16], v11
	v_mul_f64_e32 v[15:16], s[10:11], v[15:16]
	s_delay_alu instid0(VALU_DEP_1) | instskip(SKIP_2) | instid1(VALU_DEP_3)
	v_and_or_b32 v11, 0x1ff, v16, v15
	v_lshrrev_b32_e32 v13, 8, v16
	v_bfe_u32 v26, v16, 20, 11
	v_cmp_ne_u32_e64 s0, 0, v11
	s_wait_alu 0xf1ff
	s_delay_alu instid0(VALU_DEP_1) | instskip(NEXT) | instid1(VALU_DEP_1)
	v_cndmask_b32_e64 v11, 0, 1, s0
	v_and_or_b32 v15, 0xffe, v13, v11
	v_sub_nc_u32_e32 v11, 0x3f1, v26
	v_add_nc_u32_e32 v26, 0xfffffc10, v26
	s_delay_alu instid0(VALU_DEP_3) | instskip(NEXT) | instid1(VALU_DEP_3)
	v_or_b32_e32 v13, 0x1000, v15
	v_med3_i32 v11, v11, 0, 13
	s_delay_alu instid0(VALU_DEP_1) | instskip(NEXT) | instid1(VALU_DEP_1)
	v_lshrrev_b32_e32 v29, v11, v13
	v_lshlrev_b32_e32 v11, v11, v29
	s_delay_alu instid0(VALU_DEP_1) | instskip(SKIP_3) | instid1(VALU_DEP_1)
	v_cmp_ne_u32_e64 s0, v11, v13
	scratch_load_b32 v13, off, off offset:152 th:TH_LOAD_LU ; 4-byte Folded Reload
	v_lshrrev_b32_e32 v11, 16, v10
	s_wait_loadcnt 0x0
	v_mul_f16_e32 v33, v13, v11
	v_mul_f16_e32 v13, v13, v10
	s_delay_alu instid0(VALU_DEP_2) | instskip(SKIP_1) | instid1(VALU_DEP_1)
	v_fmac_f16_e32 v33, v38, v10
	v_cvt_f64_f32_e32 v[9:10], v9
	v_mul_f64_e32 v[9:10], s[10:11], v[9:10]
	s_delay_alu instid0(VALU_DEP_1) | instskip(SKIP_1) | instid1(VALU_DEP_2)
	v_and_or_b32 v9, 0x1ff, v10, v9
	v_lshrrev_b32_e32 v22, 8, v10
	v_cmp_ne_u32_e64 s3, 0, v9
	s_wait_alu 0xf1ff
	s_delay_alu instid0(VALU_DEP_1) | instskip(NEXT) | instid1(VALU_DEP_1)
	v_cndmask_b32_e64 v9, 0, 1, s3
	v_and_or_b32 v9, 0xffe, v22, v9
	v_bfe_u32 v22, v10, 20, 11
	v_lshrrev_b32_e32 v10, 16, v10
	s_delay_alu instid0(VALU_DEP_3) | instskip(NEXT) | instid1(VALU_DEP_3)
	v_or_b32_e32 v35, 0x1000, v9
	v_sub_nc_u32_e32 v23, 0x3f1, v22
	v_add_nc_u32_e32 v22, 0xfffffc10, v22
	s_delay_alu instid0(VALU_DEP_2) | instskip(NEXT) | instid1(VALU_DEP_1)
	v_med3_i32 v23, v23, 0, 13
	v_lshrrev_b32_e32 v36, v23, v35
	s_delay_alu instid0(VALU_DEP_1) | instskip(NEXT) | instid1(VALU_DEP_1)
	v_lshlrev_b32_e32 v23, v23, v36
	v_cmp_ne_u32_e64 s3, v23, v35
	v_lshl_or_b32 v35, v22, 12, v9
	s_wait_alu 0xf1ff
	s_delay_alu instid0(VALU_DEP_2) | instskip(SKIP_1) | instid1(VALU_DEP_2)
	v_cndmask_b32_e64 v23, 0, 1, s3
	v_cmp_gt_i32_e64 s3, 1, v22
	v_or_b32_e32 v23, v36, v23
	scratch_load_b32 v36, off, off offset:104 th:TH_LOAD_LU ; 4-byte Folded Reload
	s_wait_alu 0xf1ff
	v_cndmask_b32_e64 v23, v35, v23, s3
	s_delay_alu instid0(VALU_DEP_1) | instskip(SKIP_1) | instid1(VALU_DEP_2)
	v_and_b32_e32 v35, 7, v23
	v_lshrrev_b32_e32 v23, 2, v23
	v_cmp_lt_i32_e64 s3, 5, v35
	v_cmp_eq_u32_e64 s4, 3, v35
	v_cndmask_b32_e64 v35, 0, 1, s2
	v_cmp_ne_u32_e64 s2, 0, v9
	v_add_nc_u32_e32 v9, 0xfffffc10, v24
	s_delay_alu instid0(VALU_DEP_4) | instskip(NEXT) | instid1(VALU_DEP_3)
	s_or_b32 s3, s4, s3
	v_or_b32_e32 v27, v27, v35
	s_wait_alu 0xfffe
	v_add_co_ci_u32_e64 v23, s3, 0, v23, s3
	v_lshl_or_b32 v24, v9, 12, v2
	v_cmp_gt_i32_e64 s5, 1, v9
	v_cmp_gt_i32_e64 s3, 31, v22
	v_cmp_ne_u32_e64 s4, 0, v2
	s_wait_alu 0xf1ff
	s_delay_alu instid0(VALU_DEP_3) | instskip(SKIP_3) | instid1(VALU_DEP_4)
	v_cndmask_b32_e64 v24, v24, v27, s5
	v_cndmask_b32_e64 v27, 0, 1, s2
	;; [unrolled: 1-line block ×3, first 2 shown]
	v_cmp_eq_u32_e64 s2, 0x40f, v22
	v_lshrrev_b32_e32 v2, 2, v24
	s_delay_alu instid0(VALU_DEP_4) | instskip(SKIP_1) | instid1(VALU_DEP_1)
	v_lshl_or_b32 v27, v27, 9, 0x7c00
	s_wait_alu 0xf1ff
	v_cndmask_b32_e64 v22, v23, v27, s2
	v_and_b32_e32 v23, 7, v24
	s_delay_alu instid0(VALU_DEP_2) | instskip(NEXT) | instid1(VALU_DEP_2)
	v_and_or_b32 v10, 0x8000, v10, v22
	v_cmp_lt_i32_e64 s2, 5, v23
	v_cmp_eq_u32_e64 s3, 3, v23
	v_cndmask_b32_e64 v23, 0, 1, s4
	s_delay_alu instid0(VALU_DEP_2) | instskip(NEXT) | instid1(VALU_DEP_1)
	s_or_b32 s2, s3, s2
	v_lshl_or_b32 v23, v23, 9, 0x7c00
	s_wait_alu 0xfffe
	v_add_co_ci_u32_e64 v2, s2, 0, v2, s2
	v_cmp_gt_i32_e64 s2, 31, v9
	s_wait_alu 0xf1ff
	s_delay_alu instid0(VALU_DEP_1) | instskip(SKIP_3) | instid1(VALU_DEP_2)
	v_cndmask_b32_e64 v2, 0x7c00, v2, s2
	v_cmp_eq_u32_e64 s2, 0x40f, v9
	v_lshrrev_b32_e32 v9, 16, v25
	s_wait_alu 0xf1ff
	v_cndmask_b32_e64 v2, v2, v23, s2
	s_delay_alu instid0(VALU_DEP_1) | instskip(SKIP_1) | instid1(VALU_DEP_1)
	v_and_or_b32 v2, 0x8000, v9, v2
	v_and_b32_e32 v9, 0xffff, v10
	v_lshl_or_b32 v2, v2, 16, v9
	v_mul_f16_e32 v9, v39, v30
	global_store_b32 v[5:6], v2, off
	v_fmac_f16_e32 v9, v37, v19
	scratch_load_b32 v37, off, off offset:128 th:TH_LOAD_LU ; 4-byte Folded Reload
	v_add_co_u32 v5, s2, v5, s14
	s_wait_alu 0xf1ff
	v_add_co_ci_u32_e64 v6, s2, s15, v6, s2
	v_cvt_f32_f16_e32 v9, v9
	v_fma_f16 v2, v38, v11, -v13
	scratch_load_b32 v38, off, off offset:96 th:TH_LOAD_LU ; 4-byte Folded Reload
	v_cvt_f64_f32_e32 v[9:10], v9
	v_cvt_f32_f16_e32 v2, v2
	s_delay_alu instid0(VALU_DEP_1) | instskip(NEXT) | instid1(VALU_DEP_3)
	v_cvt_f64_f32_e32 v[24:25], v2
	v_mul_f64_e32 v[9:10], s[10:11], v[9:10]
	s_delay_alu instid0(VALU_DEP_2) | instskip(NEXT) | instid1(VALU_DEP_2)
	v_mul_f64_e32 v[24:25], s[10:11], v[24:25]
	v_and_or_b32 v9, 0x1ff, v10, v9
	v_lshrrev_b32_e32 v11, 8, v10
	s_delay_alu instid0(VALU_DEP_2) | instskip(NEXT) | instid1(VALU_DEP_4)
	v_cmp_ne_u32_e64 s2, 0, v9
	v_and_or_b32 v2, 0x1ff, v25, v24
	v_bfe_u32 v24, v25, 20, 11
	s_wait_alu 0xf1ff
	s_delay_alu instid0(VALU_DEP_3) | instskip(NEXT) | instid1(VALU_DEP_1)
	v_cndmask_b32_e64 v9, 0, 1, s2
	v_and_or_b32 v9, 0xffe, v11, v9
	v_bfe_u32 v11, v10, 20, 11
	v_lshrrev_b32_e32 v10, 16, v10
	s_delay_alu instid0(VALU_DEP_3) | instskip(NEXT) | instid1(VALU_DEP_3)
	v_or_b32_e32 v19, 0x1000, v9
	v_sub_nc_u32_e32 v13, 0x3f1, v11
	v_add_nc_u32_e32 v11, 0xfffffc10, v11
	v_cmp_ne_u32_e64 s3, 0, v9
	s_delay_alu instid0(VALU_DEP_3) | instskip(NEXT) | instid1(VALU_DEP_1)
	v_med3_i32 v13, v13, 0, 13
	v_lshrrev_b32_e32 v22, v13, v19
	s_delay_alu instid0(VALU_DEP_1) | instskip(NEXT) | instid1(VALU_DEP_1)
	v_lshlrev_b32_e32 v13, v13, v22
	v_cmp_ne_u32_e64 s2, v13, v19
	v_lshl_or_b32 v19, v11, 12, v9
	s_wait_alu 0xf1ff
	s_delay_alu instid0(VALU_DEP_2) | instskip(SKIP_1) | instid1(VALU_DEP_2)
	v_cndmask_b32_e64 v13, 0, 1, s2
	v_cmp_gt_i32_e64 s2, 1, v11
	v_or_b32_e32 v13, v22, v13
	v_add_nc_u32_e32 v22, 0xfffffc10, v32
	scratch_load_b32 v32, off, off offset:112 th:TH_LOAD_LU ; 4-byte Folded Reload
	s_wait_alu 0xf1ff
	v_cndmask_b32_e64 v13, v19, v13, s2
	v_cndmask_b32_e64 v19, 0, 1, s1
	v_lshl_or_b32 v23, v22, 12, v31
	v_cmp_gt_i32_e64 s1, 1, v22
	s_delay_alu instid0(VALU_DEP_3) | instskip(SKIP_1) | instid1(VALU_DEP_1)
	v_or_b32_e32 v19, v34, v19
	s_wait_alu 0xf1ff
	v_cndmask_b32_e64 v19, v23, v19, s1
	v_and_b32_e32 v23, 7, v13
	s_delay_alu instid0(VALU_DEP_2) | instskip(NEXT) | instid1(VALU_DEP_2)
	v_and_b32_e32 v9, 7, v19
	v_cmp_lt_i32_e64 s1, 5, v23
	v_cmp_eq_u32_e64 s2, 3, v23
	s_delay_alu instid0(VALU_DEP_3) | instskip(SKIP_2) | instid1(VALU_DEP_4)
	v_cmp_lt_i32_e64 s4, 5, v9
	v_cmp_eq_u32_e64 s5, 3, v9
	v_lshrrev_b32_e32 v9, 2, v13
	s_or_b32 s1, s2, s1
	v_cndmask_b32_e64 v13, 0, 1, s3
	s_delay_alu instid0(VALU_DEP_3)
	s_or_b32 s2, s5, s4
	s_wait_alu 0xfffe
	v_add_co_ci_u32_e64 v9, s1, 0, v9, s1
	v_cmp_gt_i32_e64 s1, 31, v11
	v_lshl_or_b32 v13, v13, 9, 0x7c00
	s_wait_alu 0xf1ff
	s_delay_alu instid0(VALU_DEP_2) | instskip(SKIP_3) | instid1(VALU_DEP_2)
	v_cndmask_b32_e64 v9, 0x7c00, v9, s1
	v_cmp_eq_u32_e64 s1, 0x40f, v11
	v_lshrrev_b32_e32 v11, 2, v19
	s_wait_alu 0xf1ff
	v_cndmask_b32_e64 v9, v9, v13, s1
	v_cmp_ne_u32_e64 s1, 0, v31
	s_delay_alu instid0(VALU_DEP_3) | instskip(SKIP_1) | instid1(VALU_DEP_4)
	v_add_co_ci_u32_e64 v11, s2, 0, v11, s2
	v_cmp_gt_i32_e64 s2, 31, v22
	v_and_or_b32 v9, 0x8000, v10, v9
	s_wait_alu 0xf1ff
	v_cndmask_b32_e64 v13, 0, 1, s1
	v_cmp_eq_u32_e64 s1, 0x40f, v22
	v_cndmask_b32_e64 v11, 0x7c00, v11, s2
	v_and_b32_e32 v9, 0xffff, v9
	s_delay_alu instid0(VALU_DEP_4) | instskip(SKIP_1) | instid1(VALU_DEP_1)
	v_lshl_or_b32 v13, v13, 9, 0x7c00
	s_wait_alu 0xf1ff
	v_cndmask_b32_e64 v11, v11, v13, s1
	s_delay_alu instid0(VALU_DEP_1)
	v_and_or_b32 v7, 0x8000, v7, v11
	ds_load_2addr_b32 v[10:11], v73 offset0:68 offset1:128
	v_lshl_or_b32 v7, v7, 16, v9
	global_store_b32 v[5:6], v7, off
	v_add_co_u32 v5, s1, v5, s14
	s_wait_alu 0xf1ff
	v_add_co_ci_u32_e64 v6, s1, s15, v6, s1
	s_wait_dscnt 0x0
	v_lshrrev_b32_e32 v7, 16, v10
	s_wait_loadcnt 0x2
	v_mul_f16_e32 v9, v37, v10
	s_delay_alu instid0(VALU_DEP_1)
	v_fma_f16 v9, v36, v7, -v9
	v_mul_f16_e32 v7, v37, v7
	scratch_load_b32 v37, off, off offset:68 th:TH_LOAD_LU ; 4-byte Folded Reload
	v_cvt_f32_f16_e32 v9, v9
	v_fmac_f16_e32 v7, v36, v10
	scratch_load_b32 v36, off, off offset:108 th:TH_LOAD_LU ; 4-byte Folded Reload
	v_cvt_f64_f32_e32 v[22:23], v9
	v_cvt_f32_f16_e32 v7, v7
	s_delay_alu instid0(VALU_DEP_2) | instskip(NEXT) | instid1(VALU_DEP_1)
	v_mul_f64_e32 v[22:23], s[10:11], v[22:23]
	v_and_or_b32 v9, 0x1ff, v23, v22
	v_lshrrev_b32_e32 v13, 8, v23
	v_bfe_u32 v22, v23, 20, 11
	s_delay_alu instid0(VALU_DEP_3) | instskip(SKIP_1) | instid1(VALU_DEP_1)
	v_cmp_ne_u32_e64 s1, 0, v9
	s_wait_alu 0xf1ff
	v_cndmask_b32_e64 v9, 0, 1, s1
	v_cmp_ne_u32_e64 s1, 0, v2
	s_delay_alu instid0(VALU_DEP_2) | instskip(SKIP_2) | instid1(VALU_DEP_3)
	v_and_or_b32 v19, 0xffe, v13, v9
	v_sub_nc_u32_e32 v9, 0x3f1, v22
	s_wait_alu 0xf1ff
	v_cndmask_b32_e64 v2, 0, 1, s1
	s_delay_alu instid0(VALU_DEP_3) | instskip(NEXT) | instid1(VALU_DEP_3)
	v_or_b32_e32 v13, 0x1000, v19
	v_med3_i32 v9, v9, 0, 13
	s_delay_alu instid0(VALU_DEP_1) | instskip(NEXT) | instid1(VALU_DEP_1)
	v_lshrrev_b32_e32 v27, v9, v13
	v_lshlrev_b32_e32 v9, v9, v27
	s_delay_alu instid0(VALU_DEP_1) | instskip(SKIP_1) | instid1(VALU_DEP_1)
	v_cmp_ne_u32_e64 s2, v9, v13
	v_lshrrev_b32_e32 v9, 8, v25
	v_and_or_b32 v2, 0xffe, v9, v2
	v_sub_nc_u32_e32 v9, 0x3f1, v24
	v_add_nc_u32_e32 v24, 0xfffffc10, v24
	s_delay_alu instid0(VALU_DEP_3) | instskip(NEXT) | instid1(VALU_DEP_3)
	v_or_b32_e32 v13, 0x1000, v2
	v_med3_i32 v9, v9, 0, 13
	v_cmp_ne_u32_e64 s6, 0, v2
	s_delay_alu instid0(VALU_DEP_2) | instskip(NEXT) | instid1(VALU_DEP_1)
	v_lshrrev_b32_e32 v30, v9, v13
	v_lshlrev_b32_e32 v9, v9, v30
	s_delay_alu instid0(VALU_DEP_1) | instskip(SKIP_3) | instid1(VALU_DEP_1)
	v_cmp_ne_u32_e64 s1, v9, v13
	scratch_load_b32 v13, off, off offset:132 th:TH_LOAD_LU ; 4-byte Folded Reload
	v_lshrrev_b32_e32 v9, 16, v12
	s_wait_loadcnt 0x0
	v_mul_f16_e32 v31, v13, v9
	v_mul_f16_e32 v13, v13, v12
	s_delay_alu instid0(VALU_DEP_2) | instskip(NEXT) | instid1(VALU_DEP_2)
	v_fmac_f16_e32 v31, v32, v12
	v_fma_f16 v32, v32, v9, -v13
	v_cvt_f32_f16_e32 v9, v28
	s_delay_alu instid0(VALU_DEP_1) | instskip(NEXT) | instid1(VALU_DEP_1)
	v_cvt_f64_f32_e32 v[12:13], v9
	v_mul_f64_e32 v[12:13], s[10:11], v[12:13]
	s_delay_alu instid0(VALU_DEP_1) | instskip(SKIP_1) | instid1(VALU_DEP_2)
	v_and_or_b32 v9, 0x1ff, v13, v12
	v_lshrrev_b32_e32 v12, 8, v13
	v_cmp_ne_u32_e64 s3, 0, v9
	s_wait_alu 0xf1ff
	s_delay_alu instid0(VALU_DEP_1) | instskip(NEXT) | instid1(VALU_DEP_1)
	v_cndmask_b32_e64 v9, 0, 1, s3
	v_and_or_b32 v9, 0xffe, v12, v9
	v_bfe_u32 v12, v13, 20, 11
	v_lshrrev_b32_e32 v13, 16, v13
	s_delay_alu instid0(VALU_DEP_3) | instskip(NEXT) | instid1(VALU_DEP_3)
	v_or_b32_e32 v34, 0x1000, v9
	v_sub_nc_u32_e32 v28, 0x3f1, v12
	v_add_nc_u32_e32 v12, 0xfffffc10, v12
	v_cmp_ne_u32_e64 s5, 0, v9
	s_delay_alu instid0(VALU_DEP_3) | instskip(NEXT) | instid1(VALU_DEP_1)
	v_med3_i32 v28, v28, 0, 13
	v_lshrrev_b32_e32 v35, v28, v34
	s_delay_alu instid0(VALU_DEP_1) | instskip(NEXT) | instid1(VALU_DEP_1)
	v_lshlrev_b32_e32 v28, v28, v35
	v_cmp_ne_u32_e64 s3, v28, v34
	v_lshl_or_b32 v34, v12, 12, v9
	v_cndmask_b32_e64 v9, 0, 1, s0
	v_cmp_gt_i32_e64 s0, 1, v26
	s_wait_alu 0xf1ff
	v_cndmask_b32_e64 v28, 0, 1, s3
	v_cmp_gt_i32_e64 s3, 1, v12
	v_or_b32_e32 v9, v29, v9
	v_lshl_or_b32 v29, v26, 12, v15
	s_delay_alu instid0(VALU_DEP_4)
	v_or_b32_e32 v28, v35, v28
	scratch_load_b32 v35, off, off offset:84 th:TH_LOAD_LU ; 4-byte Folded Reload
	v_cndmask_b32_e64 v9, v29, v9, s0
	v_cndmask_b32_e64 v29, 0, 1, s5
	s_wait_alu 0xf1ff
	v_cndmask_b32_e64 v28, v34, v28, s3
	s_delay_alu instid0(VALU_DEP_2) | instskip(NEXT) | instid1(VALU_DEP_2)
	v_lshl_or_b32 v29, v29, 9, 0x7c00
	v_and_b32_e32 v34, 7, v28
	v_lshrrev_b32_e32 v28, 2, v28
	s_delay_alu instid0(VALU_DEP_2) | instskip(SKIP_1) | instid1(VALU_DEP_1)
	v_cmp_lt_i32_e64 s3, 5, v34
	v_cmp_eq_u32_e64 s4, 3, v34
	s_or_b32 s0, s4, s3
	v_cmp_ne_u32_e64 s4, 0, v15
	s_wait_alu 0xfffe
	v_add_co_ci_u32_e64 v28, s0, 0, v28, s0
	v_cmp_gt_i32_e64 s0, 31, v12
	s_wait_alu 0xf1ff
	v_cndmask_b32_e64 v15, 0, 1, s4
	s_delay_alu instid0(VALU_DEP_2) | instskip(SKIP_1) | instid1(VALU_DEP_3)
	v_cndmask_b32_e64 v28, 0x7c00, v28, s0
	v_cmp_eq_u32_e64 s0, 0x40f, v12
	v_lshl_or_b32 v15, v15, 9, 0x7c00
	s_wait_alu 0xf1ff
	s_delay_alu instid0(VALU_DEP_2) | instskip(SKIP_2) | instid1(VALU_DEP_3)
	v_cndmask_b32_e64 v12, v28, v29, s0
	v_and_b32_e32 v28, 7, v9
	v_lshrrev_b32_e32 v9, 2, v9
	v_and_or_b32 v12, 0x8000, v13, v12
	s_delay_alu instid0(VALU_DEP_3) | instskip(SKIP_1) | instid1(VALU_DEP_3)
	v_cmp_lt_i32_e64 s0, 5, v28
	v_cmp_eq_u32_e64 s3, 3, v28
	v_and_b32_e32 v12, 0xffff, v12
	s_delay_alu instid0(VALU_DEP_2) | instskip(SKIP_4) | instid1(VALU_DEP_1)
	s_or_b32 s0, s3, s0
	s_wait_alu 0xfffe
	v_add_co_ci_u32_e64 v9, s0, 0, v9, s0
	v_cmp_gt_i32_e64 s0, 31, v26
	s_wait_alu 0xf1ff
	v_cndmask_b32_e64 v9, 0x7c00, v9, s0
	v_cmp_eq_u32_e64 s0, 0x40f, v26
	s_wait_alu 0xf1ff
	s_delay_alu instid0(VALU_DEP_1) | instskip(SKIP_1) | instid1(VALU_DEP_1)
	v_cndmask_b32_e64 v9, v9, v15, s0
	v_lshrrev_b32_e32 v15, 16, v16
	v_and_or_b32 v9, 0x8000, v15, v9
	s_delay_alu instid0(VALU_DEP_1)
	v_lshl_or_b32 v9, v9, 16, v12
	global_store_b32 v[5:6], v9, off
	v_cvt_f64_f32_e32 v[9:10], v7
	v_add_co_u32 v5, s0, v5, s14
	s_wait_alu 0xf1ff
	v_add_co_ci_u32_e64 v6, s0, s15, v6, s0
	s_delay_alu instid0(VALU_DEP_3) | instskip(NEXT) | instid1(VALU_DEP_1)
	v_mul_f64_e32 v[9:10], s[10:11], v[9:10]
	v_and_or_b32 v7, 0x1ff, v10, v9
	v_lshrrev_b32_e32 v9, 8, v10
	s_delay_alu instid0(VALU_DEP_2) | instskip(SKIP_1) | instid1(VALU_DEP_1)
	v_cmp_ne_u32_e64 s0, 0, v7
	s_wait_alu 0xf1ff
	v_cndmask_b32_e64 v7, 0, 1, s0
	s_delay_alu instid0(VALU_DEP_1) | instskip(SKIP_2) | instid1(VALU_DEP_3)
	v_and_or_b32 v7, 0xffe, v9, v7
	v_bfe_u32 v9, v10, 20, 11
	v_lshrrev_b32_e32 v10, 16, v10
	v_or_b32_e32 v13, 0x1000, v7
	s_delay_alu instid0(VALU_DEP_3) | instskip(SKIP_2) | instid1(VALU_DEP_3)
	v_sub_nc_u32_e32 v12, 0x3f1, v9
	v_add_nc_u32_e32 v9, 0xfffffc10, v9
	v_cmp_ne_u32_e64 s4, 0, v7
	v_med3_i32 v12, v12, 0, 13
	s_delay_alu instid0(VALU_DEP_1) | instskip(NEXT) | instid1(VALU_DEP_1)
	v_lshrrev_b32_e32 v15, v12, v13
	v_lshlrev_b32_e32 v12, v12, v15
	s_delay_alu instid0(VALU_DEP_1) | instskip(SKIP_3) | instid1(VALU_DEP_3)
	v_cmp_ne_u32_e64 s0, v12, v13
	v_lshl_or_b32 v13, v9, 12, v7
	v_cndmask_b32_e64 v7, 0, 1, s2
	s_wait_alu 0xf1ff
	v_cndmask_b32_e64 v12, 0, 1, s0
	v_cmp_gt_i32_e64 s0, 1, v9
	s_delay_alu instid0(VALU_DEP_3) | instskip(NEXT) | instid1(VALU_DEP_3)
	v_or_b32_e32 v7, v27, v7
	v_or_b32_e32 v12, v15, v12
	s_wait_alu 0xf1ff
	s_delay_alu instid0(VALU_DEP_1) | instskip(NEXT) | instid1(VALU_DEP_1)
	v_cndmask_b32_e64 v12, v13, v12, s0
	v_and_b32_e32 v13, 7, v12
	v_lshrrev_b32_e32 v12, 2, v12
	s_delay_alu instid0(VALU_DEP_2) | instskip(SKIP_2) | instid1(VALU_DEP_2)
	v_cmp_lt_i32_e64 s0, 5, v13
	v_cmp_eq_u32_e64 s3, 3, v13
	v_add_nc_u32_e32 v13, 0xfffffc10, v22
	s_or_b32 s0, s3, s0
	s_delay_alu instid0(VALU_DEP_1)
	v_lshl_or_b32 v15, v13, 12, v19
	v_cmp_gt_i32_e64 s2, 1, v13
	s_wait_alu 0xfffe
	v_add_co_ci_u32_e64 v12, s0, 0, v12, s0
	v_cmp_gt_i32_e64 s0, 31, v9
	v_cmp_ne_u32_e64 s3, 0, v19
	s_wait_alu 0xf1ff
	v_cndmask_b32_e64 v7, v15, v7, s2
	v_cndmask_b32_e64 v15, 0, 1, s4
	;; [unrolled: 1-line block ×3, first 2 shown]
	v_cmp_eq_u32_e64 s0, 0x40f, v9
	s_delay_alu instid0(VALU_DEP_3) | instskip(SKIP_1) | instid1(VALU_DEP_1)
	v_lshl_or_b32 v15, v15, 9, 0x7c00
	s_wait_alu 0xf1ff
	v_cndmask_b32_e64 v9, v12, v15, s0
	v_and_b32_e32 v12, 7, v7
	v_lshrrev_b32_e32 v7, 2, v7
	s_delay_alu instid0(VALU_DEP_3) | instskip(NEXT) | instid1(VALU_DEP_3)
	v_and_or_b32 v9, 0x8000, v10, v9
	v_cmp_lt_i32_e64 s0, 5, v12
	v_cmp_eq_u32_e64 s2, 3, v12
	v_cndmask_b32_e64 v12, 0, 1, s3
	s_delay_alu instid0(VALU_DEP_4) | instskip(NEXT) | instid1(VALU_DEP_3)
	v_and_b32_e32 v9, 0xffff, v9
	s_or_b32 s0, s2, s0
	s_delay_alu instid0(VALU_DEP_2) | instskip(SKIP_4) | instid1(VALU_DEP_1)
	v_lshl_or_b32 v12, v12, 9, 0x7c00
	s_wait_alu 0xfffe
	v_add_co_ci_u32_e64 v7, s0, 0, v7, s0
	v_cmp_gt_i32_e64 s0, 31, v13
	s_wait_alu 0xf1ff
	v_cndmask_b32_e64 v7, 0x7c00, v7, s0
	v_cmp_eq_u32_e64 s0, 0x40f, v13
	s_wait_alu 0xf1ff
	s_delay_alu instid0(VALU_DEP_1) | instskip(SKIP_1) | instid1(VALU_DEP_1)
	v_cndmask_b32_e64 v7, v7, v12, s0
	v_lshrrev_b32_e32 v12, 16, v23
	v_and_or_b32 v7, 0x8000, v12, v7
	s_delay_alu instid0(VALU_DEP_1)
	v_lshl_or_b32 v7, v7, 16, v9
	ds_load_2addr_b32 v[9:10], v71 offset0:116 offset1:176
	global_store_b32 v[5:6], v7, off
	v_add_co_u32 v5, s0, v5, s14
	s_wait_alu 0xf1ff
	v_add_co_ci_u32_e64 v6, s0, s15, v6, s0
	s_wait_dscnt 0x0
	v_lshrrev_b32_e32 v19, 16, v9
	v_mul_f16_e32 v7, v36, v9
	s_wait_loadcnt 0x0
	s_delay_alu instid0(VALU_DEP_1) | instskip(SKIP_1) | instid1(VALU_DEP_2)
	v_fma_f16 v7, v35, v19, -v7
	v_mul_f16_e32 v19, v36, v19
	v_cvt_f32_f16_e32 v7, v7
	s_delay_alu instid0(VALU_DEP_2) | instskip(NEXT) | instid1(VALU_DEP_2)
	v_fmac_f16_e32 v19, v35, v9
	v_cvt_f64_f32_e32 v[12:13], v7
	s_delay_alu instid0(VALU_DEP_2) | instskip(NEXT) | instid1(VALU_DEP_2)
	v_cvt_f32_f16_e32 v9, v19
	v_mul_f64_e32 v[12:13], s[10:11], v[12:13]
	s_delay_alu instid0(VALU_DEP_1) | instskip(SKIP_2) | instid1(VALU_DEP_3)
	v_and_or_b32 v7, 0x1ff, v13, v12
	v_lshrrev_b32_e32 v12, 8, v13
	v_bfe_u32 v28, v13, 20, 11
	v_cmp_ne_u32_e64 s0, 0, v7
	s_wait_alu 0xf1ff
	s_delay_alu instid0(VALU_DEP_1) | instskip(NEXT) | instid1(VALU_DEP_1)
	v_cndmask_b32_e64 v7, 0, 1, s0
	v_and_or_b32 v12, 0xffe, v12, v7
	v_sub_nc_u32_e32 v7, 0x3f1, v28
	s_delay_alu instid0(VALU_DEP_2) | instskip(NEXT) | instid1(VALU_DEP_2)
	v_or_b32_e32 v15, 0x1000, v12
	v_med3_i32 v7, v7, 0, 13
	s_delay_alu instid0(VALU_DEP_1) | instskip(NEXT) | instid1(VALU_DEP_1)
	v_lshrrev_b32_e32 v29, v7, v15
	v_lshlrev_b32_e32 v7, v7, v29
	s_delay_alu instid0(VALU_DEP_1) | instskip(SKIP_1) | instid1(VALU_DEP_1)
	v_cmp_ne_u32_e64 s0, v7, v15
	v_cvt_f32_f16_e32 v7, v33
	v_cvt_f64_f32_e32 v[15:16], v7
	s_delay_alu instid0(VALU_DEP_1) | instskip(NEXT) | instid1(VALU_DEP_1)
	v_mul_f64_e32 v[15:16], s[10:11], v[15:16]
	v_and_or_b32 v7, 0x1ff, v16, v15
	v_lshrrev_b32_e32 v15, 8, v16
	s_delay_alu instid0(VALU_DEP_2) | instskip(SKIP_1) | instid1(VALU_DEP_1)
	v_cmp_ne_u32_e64 s2, 0, v7
	s_wait_alu 0xf1ff
	v_cndmask_b32_e64 v7, 0, 1, s2
	s_delay_alu instid0(VALU_DEP_1) | instskip(SKIP_1) | instid1(VALU_DEP_2)
	v_and_or_b32 v7, 0xffe, v15, v7
	v_bfe_u32 v15, v16, 20, 11
	v_or_b32_e32 v23, 0x1000, v7
	s_delay_alu instid0(VALU_DEP_2) | instskip(SKIP_2) | instid1(VALU_DEP_3)
	v_sub_nc_u32_e32 v22, 0x3f1, v15
	v_add_nc_u32_e32 v15, 0xfffffc10, v15
	v_cmp_ne_u32_e64 s3, 0, v7
	v_med3_i32 v22, v22, 0, 13
	s_delay_alu instid0(VALU_DEP_1) | instskip(NEXT) | instid1(VALU_DEP_1)
	v_lshrrev_b32_e32 v26, v22, v23
	v_lshlrev_b32_e32 v22, v22, v26
	s_delay_alu instid0(VALU_DEP_1) | instskip(SKIP_2) | instid1(VALU_DEP_2)
	v_cmp_ne_u32_e64 s2, v22, v23
	v_lshl_or_b32 v23, v15, 12, v7
	s_wait_alu 0xf1ff
	v_cndmask_b32_e64 v22, 0, 1, s2
	v_cmp_gt_i32_e64 s2, 1, v15
	s_delay_alu instid0(VALU_DEP_2) | instskip(SKIP_2) | instid1(VALU_DEP_2)
	v_or_b32_e32 v22, v26, v22
	v_lshl_or_b32 v26, v24, 12, v2
	s_wait_alu 0xf1ff
	v_cndmask_b32_e64 v22, v23, v22, s2
	v_cndmask_b32_e64 v23, 0, 1, s1
	v_cmp_gt_i32_e64 s1, 1, v24
	s_delay_alu instid0(VALU_DEP_3) | instskip(NEXT) | instid1(VALU_DEP_3)
	v_lshrrev_b32_e32 v2, 2, v22
	v_or_b32_e32 v23, v30, v23
	s_wait_alu 0xf1ff
	s_delay_alu instid0(VALU_DEP_1) | instskip(SKIP_1) | instid1(VALU_DEP_2)
	v_cndmask_b32_e64 v23, v26, v23, s1
	v_and_b32_e32 v26, 7, v22
	v_and_b32_e32 v7, 7, v23
	s_delay_alu instid0(VALU_DEP_2) | instskip(SKIP_1) | instid1(VALU_DEP_3)
	v_cmp_lt_i32_e64 s1, 5, v26
	v_cmp_eq_u32_e64 s2, 3, v26
	v_cmp_lt_i32_e64 s4, 5, v7
	v_cmp_eq_u32_e64 s5, 3, v7
	s_delay_alu instid0(VALU_DEP_3) | instskip(SKIP_4) | instid1(VALU_DEP_3)
	s_or_b32 s1, s2, s1
	v_cndmask_b32_e64 v7, 0, 1, s3
	s_wait_alu 0xfffe
	v_add_co_ci_u32_e64 v2, s1, 0, v2, s1
	v_cmp_gt_i32_e64 s1, 31, v15
	v_lshl_or_b32 v7, v7, 9, 0x7c00
	s_wait_alu 0xf1ff
	s_delay_alu instid0(VALU_DEP_2) | instskip(SKIP_3) | instid1(VALU_DEP_2)
	v_cndmask_b32_e64 v2, 0x7c00, v2, s1
	v_cmp_eq_u32_e64 s1, 0x40f, v15
	v_lshrrev_b32_e32 v15, 2, v23
	s_wait_alu 0xf1ff
	v_cndmask_b32_e64 v2, v2, v7, s1
	s_or_b32 s1, s5, s4
	v_lshrrev_b32_e32 v7, 16, v16
	s_wait_alu 0xfffe
	v_add_co_ci_u32_e64 v15, s1, 0, v15, s1
	v_cmp_gt_i32_e64 s1, 31, v24
	v_cndmask_b32_e64 v16, 0, 1, s6
	v_and_or_b32 v2, 0x8000, v7, v2
	s_wait_alu 0xf1ff
	s_delay_alu instid0(VALU_DEP_3) | instskip(NEXT) | instid1(VALU_DEP_3)
	v_cndmask_b32_e64 v15, 0x7c00, v15, s1
	v_lshl_or_b32 v16, v16, 9, 0x7c00
	v_cmp_eq_u32_e64 s1, 0x40f, v24
	v_and_b32_e32 v2, 0xffff, v2
	scratch_load_b32 v24, off, off offset:92 th:TH_LOAD_LU ; 4-byte Folded Reload
	s_wait_alu 0xf1ff
	v_cndmask_b32_e64 v15, v15, v16, s1
	v_lshrrev_b32_e32 v16, 16, v25
	s_delay_alu instid0(VALU_DEP_1) | instskip(SKIP_3) | instid1(VALU_DEP_3)
	v_and_or_b32 v7, 0x8000, v16, v15
	v_add_co_u32 v15, s1, v5, s14
	s_wait_alu 0xf1ff
	v_add_co_ci_u32_e64 v16, s1, s15, v6, s1
	v_lshl_or_b32 v2, v7, 16, v2
	global_store_b32 v[5:6], v2, off
	v_cvt_f32_f16_e32 v2, v32
	s_delay_alu instid0(VALU_DEP_1) | instskip(NEXT) | instid1(VALU_DEP_1)
	v_cvt_f64_f32_e32 v[5:6], v2
	v_mul_f64_e32 v[22:23], s[10:11], v[5:6]
	s_delay_alu instid0(VALU_DEP_1) | instskip(SKIP_1) | instid1(VALU_DEP_2)
	v_and_or_b32 v2, 0x1ff, v23, v22
	v_lshrrev_b32_e32 v5, 8, v23
	v_cmp_ne_u32_e64 s1, 0, v2
	s_wait_alu 0xf1ff
	s_delay_alu instid0(VALU_DEP_1) | instskip(NEXT) | instid1(VALU_DEP_1)
	v_cndmask_b32_e64 v2, 0, 1, s1
	v_and_or_b32 v2, 0xffe, v5, v2
	v_bfe_u32 v5, v23, 20, 11
	s_delay_alu instid0(VALU_DEP_2) | instskip(NEXT) | instid1(VALU_DEP_2)
	v_or_b32_e32 v7, 0x1000, v2
	v_sub_nc_u32_e32 v6, 0x3f1, v5
	v_add_nc_u32_e32 v5, 0xfffffc10, v5
	s_delay_alu instid0(VALU_DEP_2) | instskip(NEXT) | instid1(VALU_DEP_1)
	v_med3_i32 v6, v6, 0, 13
	v_lshrrev_b32_e32 v22, v6, v7
	s_delay_alu instid0(VALU_DEP_1) | instskip(NEXT) | instid1(VALU_DEP_1)
	v_lshlrev_b32_e32 v6, v6, v22
	v_cmp_ne_u32_e64 s2, v6, v7
	scratch_load_b32 v7, off, off offset:116 th:TH_LOAD_LU ; 4-byte Folded Reload
	v_lshrrev_b32_e32 v6, 16, v14
	s_wait_loadcnt 0x0
	s_delay_alu instid0(VALU_DEP_1) | instskip(SKIP_1) | instid1(VALU_DEP_2)
	v_mul_f16_e32 v30, v7, v6
	v_mul_f16_e32 v7, v7, v14
	v_fmac_f16_e32 v30, v24, v14
	s_delay_alu instid0(VALU_DEP_2) | instskip(SKIP_4) | instid1(VALU_DEP_1)
	v_fma_f16 v14, v24, v6, -v7
	ds_load_2addr_b32 v[6:7], v72 offset0:36 offset1:96
	s_wait_dscnt 0x0
	v_lshrrev_b32_e32 v32, 16, v6
	v_mul_f16_e32 v24, v38, v6
	v_fma_f16 v24, v37, v32, -v24
	s_delay_alu instid0(VALU_DEP_1) | instskip(NEXT) | instid1(VALU_DEP_1)
	v_cvt_f32_f16_e32 v24, v24
	v_cvt_f64_f32_e32 v[24:25], v24
	s_delay_alu instid0(VALU_DEP_1) | instskip(NEXT) | instid1(VALU_DEP_1)
	v_mul_f64_e32 v[24:25], s[10:11], v[24:25]
	v_and_or_b32 v24, 0x1ff, v25, v24
	v_lshrrev_b32_e32 v26, 8, v25
	v_bfe_u32 v33, v25, 20, 11
	s_delay_alu instid0(VALU_DEP_3) | instskip(SKIP_1) | instid1(VALU_DEP_1)
	v_cmp_ne_u32_e64 s1, 0, v24
	s_wait_alu 0xf1ff
	v_cndmask_b32_e64 v24, 0, 1, s1
	s_delay_alu instid0(VALU_DEP_1) | instskip(SKIP_1) | instid1(VALU_DEP_2)
	v_and_or_b32 v24, 0xffe, v26, v24
	v_sub_nc_u32_e32 v26, 0x3f1, v33
	v_or_b32_e32 v27, 0x1000, v24
	s_delay_alu instid0(VALU_DEP_2) | instskip(NEXT) | instid1(VALU_DEP_1)
	v_med3_i32 v26, v26, 0, 13
	v_lshrrev_b32_e32 v34, v26, v27
	s_delay_alu instid0(VALU_DEP_1) | instskip(NEXT) | instid1(VALU_DEP_1)
	v_lshlrev_b32_e32 v26, v26, v34
	v_cmp_ne_u32_e64 s1, v26, v27
	v_cvt_f64_f32_e32 v[26:27], v9
	s_delay_alu instid0(VALU_DEP_1) | instskip(NEXT) | instid1(VALU_DEP_1)
	v_mul_f64_e32 v[26:27], s[10:11], v[26:27]
	v_and_or_b32 v9, 0x1ff, v27, v26
	v_lshrrev_b32_e32 v19, 8, v27
	s_delay_alu instid0(VALU_DEP_2) | instskip(SKIP_1) | instid1(VALU_DEP_1)
	v_cmp_ne_u32_e64 s3, 0, v9
	s_wait_alu 0xf1ff
	v_cndmask_b32_e64 v9, 0, 1, s3
	s_delay_alu instid0(VALU_DEP_1) | instskip(SKIP_1) | instid1(VALU_DEP_2)
	v_and_or_b32 v9, 0xffe, v19, v9
	v_bfe_u32 v19, v27, 20, 11
	v_or_b32_e32 v35, 0x1000, v9
	s_delay_alu instid0(VALU_DEP_2) | instskip(SKIP_1) | instid1(VALU_DEP_2)
	v_sub_nc_u32_e32 v26, 0x3f1, v19
	v_add_nc_u32_e32 v19, 0xfffffc10, v19
	v_med3_i32 v26, v26, 0, 13
	s_delay_alu instid0(VALU_DEP_1) | instskip(NEXT) | instid1(VALU_DEP_1)
	v_lshrrev_b32_e32 v36, v26, v35
	v_lshlrev_b32_e32 v26, v26, v36
	s_delay_alu instid0(VALU_DEP_1) | instskip(SKIP_2) | instid1(VALU_DEP_2)
	v_cmp_ne_u32_e64 s3, v26, v35
	v_lshl_or_b32 v35, v19, 12, v9
	s_wait_alu 0xf1ff
	v_cndmask_b32_e64 v26, 0, 1, s3
	v_cmp_gt_i32_e64 s3, 1, v19
	s_delay_alu instid0(VALU_DEP_2) | instskip(SKIP_3) | instid1(VALU_DEP_1)
	v_or_b32_e32 v26, v36, v26
	scratch_load_b32 v36, off, off offset:72 th:TH_LOAD_LU ; 4-byte Folded Reload
	s_wait_alu 0xf1ff
	v_cndmask_b32_e64 v26, v35, v26, s3
	v_and_b32_e32 v35, 7, v26
	v_lshrrev_b32_e32 v26, 2, v26
	s_delay_alu instid0(VALU_DEP_2) | instskip(SKIP_4) | instid1(VALU_DEP_4)
	v_cmp_lt_i32_e64 s3, 5, v35
	v_cmp_eq_u32_e64 s4, 3, v35
	v_cndmask_b32_e64 v35, 0, 1, s0
	v_cmp_ne_u32_e64 s0, 0, v9
	v_add_nc_u32_e32 v9, 0xfffffc10, v28
	s_or_b32 s3, s4, s3
	s_delay_alu instid0(VALU_DEP_3)
	v_or_b32_e32 v29, v29, v35
	s_wait_alu 0xfffe
	v_add_co_ci_u32_e64 v26, s3, 0, v26, s3
	v_lshl_or_b32 v28, v9, 12, v12
	v_cmp_gt_i32_e64 s5, 1, v9
	v_cmp_gt_i32_e64 s3, 31, v19
	v_cmp_ne_u32_e64 s4, 0, v12
	scratch_load_b32 v35, off, off offset:40 th:TH_LOAD_LU ; 4-byte Folded Reload
	s_wait_alu 0xf1ff
	v_cndmask_b32_e64 v28, v28, v29, s5
	v_cndmask_b32_e64 v29, 0, 1, s0
	;; [unrolled: 1-line block ×3, first 2 shown]
	v_cmp_eq_u32_e64 s0, 0x40f, v19
	v_cmp_gt_i32_e64 s5, 1, v5
	v_lshrrev_b32_e32 v12, 2, v28
	v_lshl_or_b32 v29, v29, 9, 0x7c00
	s_wait_alu 0xf1ff
	s_delay_alu instid0(VALU_DEP_1) | instskip(SKIP_2) | instid1(VALU_DEP_1)
	v_cndmask_b32_e64 v19, v26, v29, s0
	v_lshrrev_b32_e32 v26, 16, v27
	v_and_b32_e32 v27, 7, v28
	v_cmp_lt_i32_e64 s0, 5, v27
	v_cmp_eq_u32_e64 s3, 3, v27
	v_cndmask_b32_e64 v27, 0, 1, s4
	s_delay_alu instid0(VALU_DEP_2) | instskip(NEXT) | instid1(VALU_DEP_1)
	s_or_b32 s0, s3, s0
	v_lshl_or_b32 v27, v27, 9, 0x7c00
	s_wait_alu 0xfffe
	v_add_co_ci_u32_e64 v12, s0, 0, v12, s0
	v_cmp_gt_i32_e64 s0, 31, v9
	s_wait_alu 0xf1ff
	s_delay_alu instid0(VALU_DEP_1) | instskip(SKIP_2) | instid1(VALU_DEP_1)
	v_cndmask_b32_e64 v12, 0x7c00, v12, s0
	v_cmp_eq_u32_e64 s0, 0x40f, v9
	s_wait_alu 0xf1ff
	v_cndmask_b32_e64 v9, v12, v27, s0
	v_lshrrev_b32_e32 v12, 16, v13
	v_and_or_b32 v13, 0x8000, v26, v19
	s_delay_alu instid0(VALU_DEP_2) | instskip(NEXT) | instid1(VALU_DEP_2)
	v_and_or_b32 v9, 0x8000, v12, v9
	v_and_b32_e32 v12, 0xffff, v13
	s_delay_alu instid0(VALU_DEP_1)
	v_lshl_or_b32 v9, v9, 16, v12
	v_add_co_u32 v12, s0, v15, s14
	s_wait_alu 0xf1ff
	v_add_co_ci_u32_e64 v13, s0, s15, v16, s0
	global_store_b32 v[15:16], v9, off
	v_cvt_f32_f16_e32 v9, v14
	s_delay_alu instid0(VALU_DEP_1) | instskip(NEXT) | instid1(VALU_DEP_1)
	v_cvt_f64_f32_e32 v[14:15], v9
	v_mul_f64_e32 v[14:15], s[10:11], v[14:15]
	s_delay_alu instid0(VALU_DEP_1) | instskip(SKIP_1) | instid1(VALU_DEP_2)
	v_and_or_b32 v9, 0x1ff, v15, v14
	v_lshrrev_b32_e32 v14, 8, v15
	v_cmp_ne_u32_e64 s0, 0, v9
	s_wait_alu 0xf1ff
	s_delay_alu instid0(VALU_DEP_1) | instskip(NEXT) | instid1(VALU_DEP_1)
	v_cndmask_b32_e64 v9, 0, 1, s0
	v_and_or_b32 v9, 0xffe, v14, v9
	v_bfe_u32 v14, v15, 20, 11
	s_delay_alu instid0(VALU_DEP_2) | instskip(NEXT) | instid1(VALU_DEP_2)
	v_or_b32_e32 v19, 0x1000, v9
	v_sub_nc_u32_e32 v16, 0x3f1, v14
	v_add_nc_u32_e32 v14, 0xfffffc10, v14
	s_delay_alu instid0(VALU_DEP_2) | instskip(NEXT) | instid1(VALU_DEP_1)
	v_med3_i32 v16, v16, 0, 13
	v_lshrrev_b32_e32 v28, v16, v19
	s_delay_alu instid0(VALU_DEP_1) | instskip(NEXT) | instid1(VALU_DEP_1)
	v_lshlrev_b32_e32 v16, v16, v28
	v_cmp_ne_u32_e64 s0, v16, v19
	v_cvt_f32_f16_e32 v16, v31
	s_delay_alu instid0(VALU_DEP_1) | instskip(NEXT) | instid1(VALU_DEP_1)
	v_cvt_f64_f32_e32 v[26:27], v16
	v_mul_f64_e32 v[26:27], s[10:11], v[26:27]
	s_delay_alu instid0(VALU_DEP_1) | instskip(SKIP_1) | instid1(VALU_DEP_2)
	v_and_or_b32 v16, 0x1ff, v27, v26
	v_lshrrev_b32_e32 v19, 8, v27
	v_cmp_ne_u32_e64 s3, 0, v16
	s_wait_alu 0xf1ff
	s_delay_alu instid0(VALU_DEP_1) | instskip(NEXT) | instid1(VALU_DEP_1)
	v_cndmask_b32_e64 v16, 0, 1, s3
	v_and_or_b32 v16, 0xffe, v19, v16
	v_bfe_u32 v19, v27, 20, 11
	s_delay_alu instid0(VALU_DEP_2) | instskip(NEXT) | instid1(VALU_DEP_2)
	v_or_b32_e32 v29, 0x1000, v16
	v_sub_nc_u32_e32 v26, 0x3f1, v19
	v_add_nc_u32_e32 v19, 0xfffffc10, v19
	s_delay_alu instid0(VALU_DEP_2) | instskip(NEXT) | instid1(VALU_DEP_1)
	v_med3_i32 v26, v26, 0, 13
	v_lshrrev_b32_e32 v31, v26, v29
	s_delay_alu instid0(VALU_DEP_1) | instskip(NEXT) | instid1(VALU_DEP_1)
	v_lshlrev_b32_e32 v26, v26, v31
	v_cmp_ne_u32_e64 s3, v26, v29
	v_lshl_or_b32 v29, v19, 12, v16
	s_wait_alu 0xf1ff
	s_delay_alu instid0(VALU_DEP_2) | instskip(SKIP_1) | instid1(VALU_DEP_2)
	v_cndmask_b32_e64 v26, 0, 1, s3
	v_cmp_gt_i32_e64 s3, 1, v19
	v_or_b32_e32 v26, v31, v26
	s_wait_alu 0xf1ff
	s_delay_alu instid0(VALU_DEP_1) | instskip(NEXT) | instid1(VALU_DEP_1)
	v_cndmask_b32_e64 v26, v29, v26, s3
	v_and_b32_e32 v29, 7, v26
	s_delay_alu instid0(VALU_DEP_1) | instskip(SKIP_4) | instid1(VALU_DEP_4)
	v_cmp_lt_i32_e64 s3, 5, v29
	v_cmp_eq_u32_e64 s4, 3, v29
	v_cndmask_b32_e64 v29, 0, 1, s2
	v_cmp_ne_u32_e64 s2, 0, v16
	v_lshl_or_b32 v16, v5, 12, v2
	s_or_b32 s3, s4, s3
	s_delay_alu instid0(VALU_DEP_3) | instskip(SKIP_1) | instid1(VALU_DEP_2)
	v_or_b32_e32 v22, v22, v29
	v_cmp_ne_u32_e64 s4, 0, v2
	v_cndmask_b32_e64 v16, v16, v22, s5
	v_lshrrev_b32_e32 v22, 2, v26
	v_cndmask_b32_e64 v26, 0, 1, s2
	v_cmp_eq_u32_e64 s2, 0x40f, v19
	v_cmp_gt_i32_e64 s5, 1, v14
	v_lshrrev_b32_e32 v2, 2, v16
	s_wait_alu 0xfffe
	v_add_co_ci_u32_e64 v22, s3, 0, v22, s3
	v_cmp_gt_i32_e64 s3, 31, v19
	v_lshl_or_b32 v26, v26, 9, 0x7c00
	s_wait_alu 0xf1ff
	s_delay_alu instid0(VALU_DEP_2) | instskip(NEXT) | instid1(VALU_DEP_1)
	v_cndmask_b32_e64 v22, 0x7c00, v22, s3
	v_cndmask_b32_e64 v19, v22, v26, s2
	v_and_b32_e32 v26, 7, v16
	v_cndmask_b32_e64 v16, 0, 1, s4
	v_lshrrev_b32_e32 v22, 16, v27
	s_delay_alu instid0(VALU_DEP_3) | instskip(SKIP_1) | instid1(VALU_DEP_4)
	v_cmp_lt_i32_e64 s2, 5, v26
	v_cmp_eq_u32_e64 s3, 3, v26
	v_lshl_or_b32 v16, v16, 9, 0x7c00
	s_delay_alu instid0(VALU_DEP_2) | instskip(SKIP_4) | instid1(VALU_DEP_1)
	s_or_b32 s2, s3, s2
	s_wait_alu 0xfffe
	v_add_co_ci_u32_e64 v2, s2, 0, v2, s2
	v_cmp_gt_i32_e64 s2, 31, v5
	s_wait_alu 0xf1ff
	v_cndmask_b32_e64 v2, 0x7c00, v2, s2
	v_cmp_eq_u32_e64 s2, 0x40f, v5
	v_lshrrev_b32_e32 v5, 16, v23
	s_wait_alu 0xf1ff
	s_delay_alu instid0(VALU_DEP_2) | instskip(SKIP_4) | instid1(VALU_DEP_1)
	v_cndmask_b32_e64 v2, v2, v16, s2
	v_and_or_b32 v16, 0x8000, v22, v19
	scratch_load_b32 v19, off, off offset:64 th:TH_LOAD_LU ; 4-byte Folded Reload
	v_and_or_b32 v2, 0x8000, v5, v2
	v_and_b32_e32 v5, 0xffff, v16
	v_lshl_or_b32 v2, v2, 16, v5
	scratch_load_b32 v5, off, off offset:100 th:TH_LOAD_LU ; 4-byte Folded Reload
	global_store_b32 v[12:13], v2, off
	v_lshrrev_b32_e32 v2, 16, v0
	v_add_co_u32 v12, s2, v12, s14
	s_wait_alu 0xf1ff
	v_add_co_ci_u32_e64 v13, s2, s15, v13, s2
	s_wait_loadcnt 0x0
	v_mul_f16_e32 v16, v5, v2
	v_mul_f16_e32 v5, v5, v0
	s_delay_alu instid0(VALU_DEP_2) | instskip(NEXT) | instid1(VALU_DEP_2)
	v_fmac_f16_e32 v16, v19, v0
	v_fma_f16 v0, v19, v2, -v5
	v_mul_f16_e32 v2, v38, v32
	s_delay_alu instid0(VALU_DEP_2) | instskip(NEXT) | instid1(VALU_DEP_2)
	v_cvt_f32_f16_e32 v0, v0
	v_fmac_f16_e32 v2, v37, v6
	s_delay_alu instid0(VALU_DEP_1) | instskip(NEXT) | instid1(VALU_DEP_1)
	v_cvt_f32_f16_e32 v2, v2
	v_cvt_f64_f32_e32 v[5:6], v2
	s_delay_alu instid0(VALU_DEP_1) | instskip(NEXT) | instid1(VALU_DEP_1)
	v_mul_f64_e32 v[5:6], s[10:11], v[5:6]
	v_and_or_b32 v2, 0x1ff, v6, v5
	v_lshrrev_b32_e32 v5, 8, v6
	s_delay_alu instid0(VALU_DEP_2) | instskip(SKIP_1) | instid1(VALU_DEP_1)
	v_cmp_ne_u32_e64 s2, 0, v2
	s_wait_alu 0xf1ff
	v_cndmask_b32_e64 v2, 0, 1, s2
	s_delay_alu instid0(VALU_DEP_1) | instskip(SKIP_2) | instid1(VALU_DEP_3)
	v_and_or_b32 v2, 0xffe, v5, v2
	v_bfe_u32 v5, v6, 20, 11
	v_lshrrev_b32_e32 v6, 16, v6
	v_or_b32_e32 v22, 0x1000, v2
	s_delay_alu instid0(VALU_DEP_3) | instskip(SKIP_1) | instid1(VALU_DEP_2)
	v_sub_nc_u32_e32 v19, 0x3f1, v5
	v_add_nc_u32_e32 v5, 0xfffffc10, v5
	v_med3_i32 v19, v19, 0, 13
	s_delay_alu instid0(VALU_DEP_1) | instskip(NEXT) | instid1(VALU_DEP_1)
	v_lshrrev_b32_e32 v23, v19, v22
	v_lshlrev_b32_e32 v19, v19, v23
	s_delay_alu instid0(VALU_DEP_1) | instskip(SKIP_2) | instid1(VALU_DEP_2)
	v_cmp_ne_u32_e64 s2, v19, v22
	v_lshl_or_b32 v22, v5, 12, v2
	s_wait_alu 0xf1ff
	v_cndmask_b32_e64 v19, 0, 1, s2
	v_cmp_gt_i32_e64 s2, 1, v5
	s_delay_alu instid0(VALU_DEP_2) | instskip(SKIP_1) | instid1(VALU_DEP_1)
	v_or_b32_e32 v19, v23, v19
	s_wait_alu 0xf1ff
	v_cndmask_b32_e64 v19, v22, v19, s2
	s_delay_alu instid0(VALU_DEP_1) | instskip(SKIP_1) | instid1(VALU_DEP_2)
	v_and_b32_e32 v22, 7, v19
	v_lshrrev_b32_e32 v19, 2, v19
	v_cmp_lt_i32_e64 s2, 5, v22
	v_cmp_eq_u32_e64 s3, 3, v22
	v_cndmask_b32_e64 v22, 0, 1, s1
	v_cmp_ne_u32_e64 s1, 0, v2
	v_add_nc_u32_e32 v2, 0xfffffc10, v33
	s_delay_alu instid0(VALU_DEP_4) | instskip(NEXT) | instid1(VALU_DEP_3)
	s_or_b32 s2, s3, s2
	v_or_b32_e32 v22, v34, v22
	s_wait_alu 0xfffe
	v_add_co_ci_u32_e64 v19, s2, 0, v19, s2
	v_lshl_or_b32 v23, v2, 12, v24
	v_cmp_gt_i32_e64 s4, 1, v2
	v_cmp_gt_i32_e64 s2, 31, v5
	v_cmp_ne_u32_e64 s3, 0, v24
	s_wait_alu 0xf1ff
	s_delay_alu instid0(VALU_DEP_3) | instskip(SKIP_3) | instid1(VALU_DEP_3)
	v_cndmask_b32_e64 v22, v23, v22, s4
	v_cndmask_b32_e64 v23, 0, 1, s1
	;; [unrolled: 1-line block ×3, first 2 shown]
	v_cmp_eq_u32_e64 s1, 0x40f, v5
	v_lshl_or_b32 v23, v23, 9, 0x7c00
	s_wait_alu 0xf1ff
	s_delay_alu instid0(VALU_DEP_1)
	v_cndmask_b32_e64 v5, v19, v23, s1
	v_and_b32_e32 v19, 7, v22
	scratch_load_b32 v23, off, off offset:60 th:TH_LOAD_LU ; 4-byte Folded Reload
	v_and_or_b32 v5, 0x8000, v6, v5
	v_cmp_lt_i32_e64 s1, 5, v19
	v_cmp_eq_u32_e64 s2, 3, v19
	v_lshrrev_b32_e32 v19, 2, v22
	v_cndmask_b32_e64 v22, 0, 1, s3
	v_and_b32_e32 v5, 0xffff, v5
	s_delay_alu instid0(VALU_DEP_4)
	s_or_b32 s1, s2, s1
	s_wait_alu 0xfffe
	v_add_co_ci_u32_e64 v19, s1, 0, v19, s1
	v_cmp_gt_i32_e64 s1, 31, v2
	v_lshl_or_b32 v22, v22, 9, 0x7c00
	s_wait_alu 0xf1ff
	s_delay_alu instid0(VALU_DEP_2) | instskip(SKIP_2) | instid1(VALU_DEP_1)
	v_cndmask_b32_e64 v19, 0x7c00, v19, s1
	v_cmp_eq_u32_e64 s1, 0x40f, v2
	s_wait_alu 0xf1ff
	v_cndmask_b32_e64 v2, v19, v22, s1
	v_lshrrev_b32_e32 v19, 16, v25
	s_delay_alu instid0(VALU_DEP_1) | instskip(NEXT) | instid1(VALU_DEP_1)
	v_and_or_b32 v2, 0x8000, v19, v2
	v_lshl_or_b32 v2, v2, 16, v5
	ds_load_2addr_b32 v[5:6], v21 offset0:84 offset1:144
	global_store_b32 v[12:13], v2, off
	v_add_co_u32 v12, s1, v12, s14
	s_wait_alu 0xf1ff
	v_add_co_ci_u32_e64 v13, s1, s15, v13, s1
	s_wait_dscnt 0x0
	v_lshrrev_b32_e32 v25, 16, v5
	v_mul_f16_e32 v2, v36, v5
	s_delay_alu instid0(VALU_DEP_1) | instskip(NEXT) | instid1(VALU_DEP_1)
	v_fma_f16 v2, v35, v25, -v2
	v_cvt_f32_f16_e32 v2, v2
	s_delay_alu instid0(VALU_DEP_1) | instskip(NEXT) | instid1(VALU_DEP_1)
	v_cvt_f64_f32_e32 v[21:22], v2
	v_mul_f64_e32 v[21:22], s[10:11], v[21:22]
	s_delay_alu instid0(VALU_DEP_1) | instskip(SKIP_2) | instid1(VALU_DEP_3)
	v_and_or_b32 v2, 0x1ff, v22, v21
	v_lshrrev_b32_e32 v19, 8, v22
	v_bfe_u32 v26, v22, 20, 11
	v_cmp_ne_u32_e64 s1, 0, v2
	s_wait_alu 0xf1ff
	s_delay_alu instid0(VALU_DEP_1) | instskip(NEXT) | instid1(VALU_DEP_1)
	v_cndmask_b32_e64 v2, 0, 1, s1
	v_and_or_b32 v21, 0xffe, v19, v2
	v_sub_nc_u32_e32 v2, 0x3f1, v26
	v_add_nc_u32_e32 v26, 0xfffffc10, v26
	s_delay_alu instid0(VALU_DEP_3) | instskip(NEXT) | instid1(VALU_DEP_3)
	v_or_b32_e32 v19, 0x1000, v21
	v_med3_i32 v2, v2, 0, 13
	s_delay_alu instid0(VALU_DEP_1) | instskip(NEXT) | instid1(VALU_DEP_1)
	v_lshrrev_b32_e32 v27, v2, v19
	v_lshlrev_b32_e32 v2, v2, v27
	s_delay_alu instid0(VALU_DEP_1) | instskip(SKIP_3) | instid1(VALU_DEP_1)
	v_cmp_ne_u32_e64 s2, v2, v19
	scratch_load_b32 v19, off, off offset:88 th:TH_LOAD_LU ; 4-byte Folded Reload
	v_lshrrev_b32_e32 v2, 16, v20
	s_wait_loadcnt 0x0
	v_mul_f16_e32 v29, v19, v2
	v_mul_f16_e32 v19, v19, v20
	s_delay_alu instid0(VALU_DEP_2) | instskip(NEXT) | instid1(VALU_DEP_2)
	v_fmac_f16_e32 v29, v23, v20
	v_fma_f16 v2, v23, v2, -v19
	v_cvt_f64_f32_e32 v[19:20], v0
	s_delay_alu instid0(VALU_DEP_2) | instskip(NEXT) | instid1(VALU_DEP_2)
	v_cvt_f32_f16_e32 v2, v2
	v_mul_f64_e32 v[19:20], s[10:11], v[19:20]
	s_delay_alu instid0(VALU_DEP_1) | instskip(SKIP_1) | instid1(VALU_DEP_2)
	v_and_or_b32 v0, 0x1ff, v20, v19
	v_lshrrev_b32_e32 v19, 8, v20
	v_cmp_ne_u32_e64 s1, 0, v0
	s_wait_alu 0xf1ff
	s_delay_alu instid0(VALU_DEP_1) | instskip(NEXT) | instid1(VALU_DEP_1)
	v_cndmask_b32_e64 v0, 0, 1, s1
	v_and_or_b32 v0, 0xffe, v19, v0
	v_bfe_u32 v19, v20, 20, 11
	s_delay_alu instid0(VALU_DEP_2) | instskip(NEXT) | instid1(VALU_DEP_2)
	v_or_b32_e32 v24, 0x1000, v0
	v_sub_nc_u32_e32 v23, 0x3f1, v19
	v_add_nc_u32_e32 v19, 0xfffffc10, v19
	s_delay_alu instid0(VALU_DEP_2) | instskip(NEXT) | instid1(VALU_DEP_1)
	v_med3_i32 v23, v23, 0, 13
	v_lshrrev_b32_e32 v31, v23, v24
	s_delay_alu instid0(VALU_DEP_1) | instskip(NEXT) | instid1(VALU_DEP_1)
	v_lshlrev_b32_e32 v23, v23, v31
	v_cmp_ne_u32_e64 s1, v23, v24
	v_cvt_f32_f16_e32 v23, v30
	s_delay_alu instid0(VALU_DEP_1) | instskip(NEXT) | instid1(VALU_DEP_1)
	v_cvt_f64_f32_e32 v[23:24], v23
	v_mul_f64_e32 v[23:24], s[10:11], v[23:24]
	s_delay_alu instid0(VALU_DEP_1) | instskip(SKIP_1) | instid1(VALU_DEP_2)
	v_and_or_b32 v23, 0x1ff, v24, v23
	v_lshrrev_b32_e32 v30, 8, v24
	v_cmp_ne_u32_e64 s3, 0, v23
	s_wait_alu 0xf1ff
	s_delay_alu instid0(VALU_DEP_1) | instskip(NEXT) | instid1(VALU_DEP_1)
	v_cndmask_b32_e64 v23, 0, 1, s3
	v_and_or_b32 v23, 0xffe, v30, v23
	v_bfe_u32 v30, v24, 20, 11
	v_lshrrev_b32_e32 v24, 16, v24
	s_delay_alu instid0(VALU_DEP_3) | instskip(NEXT) | instid1(VALU_DEP_3)
	v_or_b32_e32 v33, 0x1000, v23
	v_sub_nc_u32_e32 v32, 0x3f1, v30
	v_add_nc_u32_e32 v30, 0xfffffc10, v30
	s_delay_alu instid0(VALU_DEP_2) | instskip(NEXT) | instid1(VALU_DEP_1)
	v_med3_i32 v32, v32, 0, 13
	v_lshrrev_b32_e32 v34, v32, v33
	s_delay_alu instid0(VALU_DEP_1) | instskip(NEXT) | instid1(VALU_DEP_1)
	v_lshlrev_b32_e32 v32, v32, v34
	v_cmp_ne_u32_e64 s3, v32, v33
	v_lshl_or_b32 v33, v30, 12, v23
	s_wait_alu 0xf1ff
	s_delay_alu instid0(VALU_DEP_2) | instskip(SKIP_1) | instid1(VALU_DEP_2)
	v_cndmask_b32_e64 v32, 0, 1, s3
	v_cmp_gt_i32_e64 s3, 1, v30
	v_or_b32_e32 v32, v34, v32
	scratch_load_b32 v34, off, off offset:24 th:TH_LOAD_LU ; 4-byte Folded Reload
	s_wait_alu 0xf1ff
	v_cndmask_b32_e64 v32, v33, v32, s3
	s_delay_alu instid0(VALU_DEP_1) | instskip(NEXT) | instid1(VALU_DEP_1)
	v_and_b32_e32 v33, 7, v32
	v_cmp_lt_i32_e64 s3, 5, v33
	v_cmp_eq_u32_e64 s4, 3, v33
	v_cndmask_b32_e64 v33, 0, 1, s0
	v_cmp_ne_u32_e64 s0, 0, v23
	v_lshl_or_b32 v23, v14, 12, v9
	s_delay_alu instid0(VALU_DEP_4) | instskip(NEXT) | instid1(VALU_DEP_3)
	s_or_b32 s3, s4, s3
	v_or_b32_e32 v28, v28, v33
	v_cmp_ne_u32_e64 s4, 0, v9
	s_delay_alu instid0(VALU_DEP_2) | instskip(SKIP_3) | instid1(VALU_DEP_4)
	v_cndmask_b32_e64 v23, v23, v28, s5
	v_lshrrev_b32_e32 v28, 2, v32
	v_cndmask_b32_e64 v32, 0, 1, s0
	v_cmp_eq_u32_e64 s0, 0x40f, v30
	v_lshrrev_b32_e32 v9, 2, v23
	s_wait_alu 0xfffe
	v_add_co_ci_u32_e64 v28, s3, 0, v28, s3
	v_cmp_gt_i32_e64 s3, 31, v30
	v_lshl_or_b32 v32, v32, 9, 0x7c00
	v_and_b32_e32 v30, 7, v23
	s_wait_alu 0xf1ff
	v_cndmask_b32_e64 v23, 0, 1, s4
	v_cndmask_b32_e64 v28, 0x7c00, v28, s3
	s_delay_alu instid0(VALU_DEP_3) | instskip(NEXT) | instid1(VALU_DEP_3)
	v_cmp_eq_u32_e64 s3, 3, v30
	v_lshl_or_b32 v23, v23, 9, 0x7c00
	s_delay_alu instid0(VALU_DEP_3)
	v_cndmask_b32_e64 v28, v28, v32, s0
	v_cmp_lt_i32_e64 s0, 5, v30
	scratch_load_b32 v32, off, off offset:48 th:TH_LOAD_LU ; 4-byte Folded Reload
	s_or_b32 s0, s3, s0
	s_wait_alu 0xfffe
	v_add_co_ci_u32_e64 v9, s0, 0, v9, s0
	v_cmp_gt_i32_e64 s0, 31, v14
	s_wait_alu 0xf1ff
	s_delay_alu instid0(VALU_DEP_1) | instskip(SKIP_4) | instid1(VALU_DEP_3)
	v_cndmask_b32_e64 v9, 0x7c00, v9, s0
	v_cmp_eq_u32_e64 s0, 0x40f, v14
	v_lshrrev_b32_e32 v14, 16, v15
	v_and_or_b32 v15, 0x8000, v24, v28
	s_wait_alu 0xf1ff
	v_cndmask_b32_e64 v9, v9, v23, s0
	s_delay_alu instid0(VALU_DEP_1) | instskip(NEXT) | instid1(VALU_DEP_3)
	v_and_or_b32 v9, 0x8000, v14, v9
	v_and_b32_e32 v14, 0xffff, v15
	scratch_load_b32 v15, off, off offset:52 th:TH_LOAD_LU ; 4-byte Folded Reload
	v_lshl_or_b32 v9, v9, 16, v14
	scratch_load_b32 v14, off, off offset:80 th:TH_LOAD_LU ; 4-byte Folded Reload
	global_store_b32 v[12:13], v9, off
	v_lshrrev_b32_e32 v9, 16, v3
	v_add_co_u32 v12, s0, v12, s14
	s_wait_alu 0xf1ff
	v_add_co_ci_u32_e64 v13, s0, s15, v13, s0
	s_wait_loadcnt 0x0
	v_mul_f16_e32 v23, v14, v9
	v_mul_f16_e32 v14, v14, v3
	s_delay_alu instid0(VALU_DEP_2) | instskip(SKIP_1) | instid1(VALU_DEP_3)
	v_fmac_f16_e32 v23, v15, v3
	v_cvt_f64_f32_e32 v[2:3], v2
	v_fma_f16 v9, v15, v9, -v14
	s_delay_alu instid0(VALU_DEP_2) | instskip(NEXT) | instid1(VALU_DEP_1)
	v_mul_f64_e32 v[2:3], s[10:11], v[2:3]
	v_and_or_b32 v2, 0x1ff, v3, v2
	v_lshrrev_b32_e32 v14, 8, v3
	v_bfe_u32 v24, v3, 20, 11
	v_lshrrev_b32_e32 v3, 16, v3
	s_delay_alu instid0(VALU_DEP_4) | instskip(SKIP_1) | instid1(VALU_DEP_1)
	v_cmp_ne_u32_e64 s0, 0, v2
	s_wait_alu 0xf1ff
	v_cndmask_b32_e64 v2, 0, 1, s0
	s_delay_alu instid0(VALU_DEP_1) | instskip(SKIP_2) | instid1(VALU_DEP_3)
	v_and_or_b32 v2, 0xffe, v14, v2
	v_sub_nc_u32_e32 v14, 0x3f1, v24
	v_add_nc_u32_e32 v24, 0xfffffc10, v24
	v_or_b32_e32 v15, 0x1000, v2
	s_delay_alu instid0(VALU_DEP_3) | instskip(NEXT) | instid1(VALU_DEP_1)
	v_med3_i32 v14, v14, 0, 13
	v_lshrrev_b32_e32 v28, v14, v15
	s_delay_alu instid0(VALU_DEP_1) | instskip(NEXT) | instid1(VALU_DEP_1)
	v_lshlrev_b32_e32 v14, v14, v28
	v_cmp_ne_u32_e64 s4, v14, v15
	scratch_load_b32 v15, off, off offset:76 th:TH_LOAD_LU ; 4-byte Folded Reload
	v_lshrrev_b32_e32 v14, 16, v11
	s_wait_loadcnt 0x0
	s_delay_alu instid0(VALU_DEP_1) | instskip(SKIP_1) | instid1(VALU_DEP_2)
	v_mul_f16_e32 v30, v15, v14
	v_mul_f16_e32 v15, v15, v11
	v_fmac_f16_e32 v30, v32, v11
	v_mul_f16_e32 v11, v36, v25
	s_delay_alu instid0(VALU_DEP_3) | instskip(NEXT) | instid1(VALU_DEP_2)
	v_fma_f16 v32, v32, v14, -v15
	v_fmac_f16_e32 v11, v35, v5
	s_delay_alu instid0(VALU_DEP_1) | instskip(NEXT) | instid1(VALU_DEP_1)
	v_cvt_f32_f16_e32 v5, v11
	v_cvt_f64_f32_e32 v[14:15], v5
	s_delay_alu instid0(VALU_DEP_1) | instskip(NEXT) | instid1(VALU_DEP_1)
	v_mul_f64_e32 v[14:15], s[10:11], v[14:15]
	v_and_or_b32 v5, 0x1ff, v15, v14
	v_lshrrev_b32_e32 v11, 8, v15
	s_delay_alu instid0(VALU_DEP_2) | instskip(SKIP_1) | instid1(VALU_DEP_1)
	v_cmp_ne_u32_e64 s0, 0, v5
	s_wait_alu 0xf1ff
	v_cndmask_b32_e64 v5, 0, 1, s0
	s_delay_alu instid0(VALU_DEP_1) | instskip(SKIP_1) | instid1(VALU_DEP_2)
	v_and_or_b32 v5, 0xffe, v11, v5
	v_bfe_u32 v11, v15, 20, 11
	v_or_b32_e32 v25, 0x1000, v5
	s_delay_alu instid0(VALU_DEP_2) | instskip(SKIP_2) | instid1(VALU_DEP_3)
	v_sub_nc_u32_e32 v14, 0x3f1, v11
	v_add_nc_u32_e32 v11, 0xfffffc10, v11
	v_cmp_ne_u32_e64 s3, 0, v5
	v_med3_i32 v14, v14, 0, 13
	s_delay_alu instid0(VALU_DEP_1) | instskip(NEXT) | instid1(VALU_DEP_1)
	v_lshrrev_b32_e32 v33, v14, v25
	v_lshlrev_b32_e32 v14, v14, v33
	s_delay_alu instid0(VALU_DEP_1) | instskip(SKIP_2) | instid1(VALU_DEP_2)
	v_cmp_ne_u32_e64 s0, v14, v25
	v_lshl_or_b32 v25, v11, 12, v5
	s_wait_alu 0xf1ff
	v_cndmask_b32_e64 v14, 0, 1, s0
	v_cmp_gt_i32_e64 s0, 1, v11
	s_delay_alu instid0(VALU_DEP_2) | instskip(SKIP_1) | instid1(VALU_DEP_1)
	v_or_b32_e32 v14, v33, v14
	s_wait_alu 0xf1ff
	v_cndmask_b32_e64 v14, v25, v14, s0
	v_cndmask_b32_e64 v25, 0, 1, s2
	v_cmp_gt_i32_e64 s0, 1, v26
	s_delay_alu instid0(VALU_DEP_2) | instskip(SKIP_2) | instid1(VALU_DEP_1)
	v_or_b32_e32 v25, v27, v25
	v_lshl_or_b32 v27, v26, 12, v21
	s_wait_alu 0xf1ff
	v_cndmask_b32_e64 v25, v27, v25, s0
	v_and_b32_e32 v27, 7, v14
	s_delay_alu instid0(VALU_DEP_2) | instskip(NEXT) | instid1(VALU_DEP_2)
	v_and_b32_e32 v5, 7, v25
	v_cmp_lt_i32_e64 s0, 5, v27
	v_cmp_eq_u32_e64 s2, 3, v27
	s_delay_alu instid0(VALU_DEP_3) | instskip(SKIP_2) | instid1(VALU_DEP_4)
	v_cmp_lt_i32_e64 s5, 5, v5
	v_cmp_eq_u32_e64 s6, 3, v5
	v_lshrrev_b32_e32 v5, 2, v14
	s_or_b32 s0, s2, s0
	v_cndmask_b32_e64 v14, 0, 1, s3
	s_delay_alu instid0(VALU_DEP_3)
	s_or_b32 s2, s6, s5
	s_wait_alu 0xfffe
	v_add_co_ci_u32_e64 v5, s0, 0, v5, s0
	v_cmp_gt_i32_e64 s0, 31, v11
	v_lshl_or_b32 v14, v14, 9, 0x7c00
	s_wait_alu 0xf1ff
	s_delay_alu instid0(VALU_DEP_2) | instskip(SKIP_3) | instid1(VALU_DEP_2)
	v_cndmask_b32_e64 v5, 0x7c00, v5, s0
	v_cmp_eq_u32_e64 s0, 0x40f, v11
	v_lshrrev_b32_e32 v11, 16, v15
	s_wait_alu 0xf1ff
	v_cndmask_b32_e64 v5, v5, v14, s0
	v_lshrrev_b32_e32 v14, 2, v25
	v_cmp_ne_u32_e64 s0, 0, v21
	s_delay_alu instid0(VALU_DEP_3) | instskip(NEXT) | instid1(VALU_DEP_3)
	v_and_or_b32 v5, 0x8000, v11, v5
	v_add_co_ci_u32_e64 v14, s2, 0, v14, s2
	v_cmp_gt_i32_e64 s2, 31, v26
	s_wait_alu 0xf1ff
	v_cndmask_b32_e64 v15, 0, 1, s0
	v_cmp_eq_u32_e64 s0, 0x40f, v26
	v_and_b32_e32 v5, 0xffff, v5
	v_cndmask_b32_e64 v14, 0x7c00, v14, s2
	s_delay_alu instid0(VALU_DEP_4) | instskip(SKIP_1) | instid1(VALU_DEP_1)
	v_lshl_or_b32 v15, v15, 9, 0x7c00
	s_wait_alu 0xf1ff
	v_cndmask_b32_e64 v14, v14, v15, s0
	v_lshrrev_b32_e32 v15, 16, v22
	s_delay_alu instid0(VALU_DEP_1) | instskip(NEXT) | instid1(VALU_DEP_1)
	v_and_or_b32 v11, 0x8000, v15, v14
	v_lshl_or_b32 v5, v11, 16, v5
	v_add_co_u32 v11, s0, v12, s16
	global_store_b32 v[12:13], v5, off
	v_cvt_f32_f16_e32 v5, v9
	s_wait_alu 0xf1ff
	v_add_co_ci_u32_e64 v12, s0, s17, v13, s0
	s_delay_alu instid0(VALU_DEP_2) | instskip(NEXT) | instid1(VALU_DEP_1)
	v_cvt_f64_f32_e32 v[13:14], v5
	v_mul_f64_e32 v[13:14], s[10:11], v[13:14]
	s_delay_alu instid0(VALU_DEP_1) | instskip(SKIP_2) | instid1(VALU_DEP_3)
	v_and_or_b32 v5, 0x1ff, v14, v13
	v_lshrrev_b32_e32 v9, 8, v14
	v_bfe_u32 v13, v14, 20, 11
	v_cmp_ne_u32_e64 s0, 0, v5
	s_wait_alu 0xf1ff
	s_delay_alu instid0(VALU_DEP_1) | instskip(NEXT) | instid1(VALU_DEP_1)
	v_cndmask_b32_e64 v5, 0, 1, s0
	v_and_or_b32 v5, 0xffe, v9, v5
	v_sub_nc_u32_e32 v9, 0x3f1, v13
	v_add_nc_u32_e32 v13, 0xfffffc10, v13
	s_delay_alu instid0(VALU_DEP_3) | instskip(NEXT) | instid1(VALU_DEP_3)
	v_or_b32_e32 v15, 0x1000, v5
	v_med3_i32 v9, v9, 0, 13
	s_delay_alu instid0(VALU_DEP_1) | instskip(NEXT) | instid1(VALU_DEP_1)
	v_lshrrev_b32_e32 v21, v9, v15
	v_lshlrev_b32_e32 v9, v9, v21
	s_delay_alu instid0(VALU_DEP_1) | instskip(SKIP_1) | instid1(VALU_DEP_1)
	v_cmp_ne_u32_e64 s0, v9, v15
	v_cvt_f32_f16_e32 v9, v16
	v_cvt_f64_f32_e32 v[15:16], v9
	s_delay_alu instid0(VALU_DEP_1) | instskip(NEXT) | instid1(VALU_DEP_1)
	v_mul_f64_e32 v[15:16], s[10:11], v[15:16]
	v_and_or_b32 v9, 0x1ff, v16, v15
	v_lshrrev_b32_e32 v15, 8, v16
	s_delay_alu instid0(VALU_DEP_2) | instskip(SKIP_1) | instid1(VALU_DEP_1)
	v_cmp_ne_u32_e64 s2, 0, v9
	s_wait_alu 0xf1ff
	v_cndmask_b32_e64 v9, 0, 1, s2
	s_delay_alu instid0(VALU_DEP_1) | instskip(SKIP_2) | instid1(VALU_DEP_3)
	v_and_or_b32 v9, 0xffe, v15, v9
	v_bfe_u32 v15, v16, 20, 11
	v_lshrrev_b32_e32 v16, 16, v16
	v_or_b32_e32 v25, 0x1000, v9
	s_delay_alu instid0(VALU_DEP_3) | instskip(SKIP_2) | instid1(VALU_DEP_3)
	v_sub_nc_u32_e32 v22, 0x3f1, v15
	v_add_nc_u32_e32 v15, 0xfffffc10, v15
	v_cmp_ne_u32_e64 s5, 0, v9
	v_med3_i32 v22, v22, 0, 13
	s_delay_alu instid0(VALU_DEP_1) | instskip(NEXT) | instid1(VALU_DEP_1)
	v_lshrrev_b32_e32 v26, v22, v25
	v_lshlrev_b32_e32 v22, v22, v26
	s_delay_alu instid0(VALU_DEP_1)
	v_cmp_ne_u32_e64 s2, v22, v25
	v_lshl_or_b32 v25, v15, 12, v9
	v_cndmask_b32_e64 v9, 0, 1, s1
	v_cmp_gt_i32_e64 s1, 1, v19
	s_wait_alu 0xf1ff
	v_cndmask_b32_e64 v22, 0, 1, s2
	v_cmp_gt_i32_e64 s2, 1, v15
	v_or_b32_e32 v9, v31, v9
	s_delay_alu instid0(VALU_DEP_3) | instskip(SKIP_1) | instid1(VALU_DEP_1)
	v_or_b32_e32 v22, v26, v22
	s_wait_alu 0xf1ff
	v_cndmask_b32_e64 v22, v25, v22, s2
	s_delay_alu instid0(VALU_DEP_1) | instskip(SKIP_1) | instid1(VALU_DEP_2)
	v_and_b32_e32 v25, 7, v22
	v_lshrrev_b32_e32 v22, 2, v22
	v_cmp_lt_i32_e64 s2, 5, v25
	v_cmp_eq_u32_e64 s3, 3, v25
	v_lshl_or_b32 v25, v19, 12, v0
	s_delay_alu instid0(VALU_DEP_1) | instskip(NEXT) | instid1(VALU_DEP_3)
	v_cndmask_b32_e64 v9, v25, v9, s1
	s_or_b32 s1, s3, s2
	v_cndmask_b32_e64 v25, 0, 1, s5
	s_wait_alu 0xfffe
	v_add_co_ci_u32_e64 v22, s1, 0, v22, s1
	v_cmp_gt_i32_e64 s1, 31, v15
	v_cmp_ne_u32_e64 s3, 0, v0
	v_lshl_or_b32 v25, v25, 9, 0x7c00
	v_lshrrev_b32_e32 v0, 2, v9
	s_wait_alu 0xf1ff
	v_cndmask_b32_e64 v22, 0x7c00, v22, s1
	v_cmp_eq_u32_e64 s1, 0x40f, v15
	s_wait_alu 0xf1ff
	s_delay_alu instid0(VALU_DEP_1) | instskip(SKIP_2) | instid1(VALU_DEP_3)
	v_cndmask_b32_e64 v15, v22, v25, s1
	v_and_b32_e32 v22, 7, v9
	v_cndmask_b32_e64 v9, 0, 1, s3
	v_and_or_b32 v15, 0x8000, v16, v15
	s_delay_alu instid0(VALU_DEP_3) | instskip(SKIP_1) | instid1(VALU_DEP_4)
	v_cmp_lt_i32_e64 s1, 5, v22
	v_cmp_eq_u32_e64 s2, 3, v22
	v_lshl_or_b32 v9, v9, 9, 0x7c00
	scratch_load_b32 v16, off, off offset:32 th:TH_LOAD_LU ; 4-byte Folded Reload
	s_or_b32 s1, s2, s1
	s_wait_alu 0xfffe
	v_add_co_ci_u32_e64 v0, s1, 0, v0, s1
	v_cmp_gt_i32_e64 s1, 31, v19
	s_wait_alu 0xf1ff
	s_delay_alu instid0(VALU_DEP_1) | instskip(SKIP_2) | instid1(VALU_DEP_1)
	v_cndmask_b32_e64 v0, 0x7c00, v0, s1
	v_cmp_eq_u32_e64 s1, 0x40f, v19
	s_wait_alu 0xf1ff
	v_cndmask_b32_e64 v0, v0, v9, s1
	v_lshrrev_b32_e32 v9, 16, v20
	s_delay_alu instid0(VALU_DEP_1)
	v_and_or_b32 v0, 0x8000, v9, v0
	v_and_b32_e32 v9, 0xffff, v15
	scratch_load_b32 v15, off, off offset:56 th:TH_LOAD_LU ; 4-byte Folded Reload
	v_lshl_or_b32 v0, v0, 16, v9
	global_store_b32 v[11:12], v0, off
	v_lshrrev_b32_e32 v0, 16, v1
	v_add_co_u32 v11, s1, v11, s14
	s_wait_alu 0xf1ff
	v_add_co_ci_u32_e64 v12, s1, s15, v12, s1
	s_wait_loadcnt 0x0
	v_mul_f16_e32 v9, v15, v0
	v_mul_f16_e32 v15, v15, v1
	s_delay_alu instid0(VALU_DEP_2) | instskip(SKIP_1) | instid1(VALU_DEP_3)
	v_fmac_f16_e32 v9, v16, v1
	v_cvt_f32_f16_e32 v1, v30
	v_fma_f16 v22, v16, v0, -v15
	s_delay_alu instid0(VALU_DEP_3) | instskip(NEXT) | instid1(VALU_DEP_3)
	v_cvt_f32_f16_e32 v9, v9
	v_cvt_f64_f32_e32 v[0:1], v1
	s_delay_alu instid0(VALU_DEP_1) | instskip(NEXT) | instid1(VALU_DEP_1)
	v_mul_f64_e32 v[0:1], s[10:11], v[0:1]
	v_and_or_b32 v0, 0x1ff, v1, v0
	v_lshrrev_b32_e32 v15, 8, v1
	v_bfe_u32 v25, v1, 20, 11
	v_lshrrev_b32_e32 v1, 16, v1
	s_delay_alu instid0(VALU_DEP_4) | instskip(SKIP_1) | instid1(VALU_DEP_1)
	v_cmp_ne_u32_e64 s1, 0, v0
	s_wait_alu 0xf1ff
	v_cndmask_b32_e64 v0, 0, 1, s1
	s_delay_alu instid0(VALU_DEP_1) | instskip(SKIP_1) | instid1(VALU_DEP_2)
	v_and_or_b32 v0, 0xffe, v15, v0
	v_sub_nc_u32_e32 v15, 0x3f1, v25
	v_or_b32_e32 v16, 0x1000, v0
	s_delay_alu instid0(VALU_DEP_2) | instskip(NEXT) | instid1(VALU_DEP_1)
	v_med3_i32 v15, v15, 0, 13
	v_lshrrev_b32_e32 v26, v15, v16
	s_delay_alu instid0(VALU_DEP_1) | instskip(NEXT) | instid1(VALU_DEP_1)
	v_lshlrev_b32_e32 v15, v15, v26
	v_cmp_ne_u32_e64 s2, v15, v16
	v_cvt_f32_f16_e32 v15, v32
	s_delay_alu instid0(VALU_DEP_1) | instskip(NEXT) | instid1(VALU_DEP_1)
	v_cvt_f64_f32_e32 v[15:16], v15
	v_mul_f64_e32 v[15:16], s[10:11], v[15:16]
	s_delay_alu instid0(VALU_DEP_1) | instskip(SKIP_3) | instid1(VALU_DEP_4)
	v_and_or_b32 v15, 0x1ff, v16, v15
	v_lshrrev_b32_e32 v19, 8, v16
	v_bfe_u32 v27, v16, 20, 11
	v_lshrrev_b32_e32 v16, 16, v16
	v_cmp_ne_u32_e64 s1, 0, v15
	s_wait_alu 0xf1ff
	s_delay_alu instid0(VALU_DEP_1) | instskip(NEXT) | instid1(VALU_DEP_1)
	v_cndmask_b32_e64 v15, 0, 1, s1
	v_and_or_b32 v15, 0xffe, v19, v15
	v_sub_nc_u32_e32 v19, 0x3f1, v27
	s_delay_alu instid0(VALU_DEP_2) | instskip(NEXT) | instid1(VALU_DEP_2)
	v_or_b32_e32 v20, 0x1000, v15
	v_med3_i32 v19, v19, 0, 13
	s_delay_alu instid0(VALU_DEP_1) | instskip(NEXT) | instid1(VALU_DEP_1)
	v_lshrrev_b32_e32 v30, v19, v20
	v_lshlrev_b32_e32 v19, v19, v30
	s_delay_alu instid0(VALU_DEP_1) | instskip(SKIP_1) | instid1(VALU_DEP_1)
	v_cmp_ne_u32_e64 s3, v19, v20
	v_cvt_f32_f16_e32 v19, v29
	v_cvt_f64_f32_e32 v[19:20], v19
	s_delay_alu instid0(VALU_DEP_1) | instskip(NEXT) | instid1(VALU_DEP_1)
	v_mul_f64_e32 v[19:20], s[10:11], v[19:20]
	v_and_or_b32 v19, 0x1ff, v20, v19
	v_lshrrev_b32_e32 v29, 8, v20
	s_delay_alu instid0(VALU_DEP_2) | instskip(SKIP_1) | instid1(VALU_DEP_1)
	v_cmp_ne_u32_e64 s1, 0, v19
	s_wait_alu 0xf1ff
	v_cndmask_b32_e64 v19, 0, 1, s1
	s_delay_alu instid0(VALU_DEP_1) | instskip(SKIP_2) | instid1(VALU_DEP_3)
	v_and_or_b32 v19, 0xffe, v29, v19
	v_bfe_u32 v29, v20, 20, 11
	v_lshrrev_b32_e32 v20, 16, v20
	v_or_b32_e32 v32, 0x1000, v19
	s_delay_alu instid0(VALU_DEP_3) | instskip(SKIP_2) | instid1(VALU_DEP_3)
	v_sub_nc_u32_e32 v31, 0x3f1, v29
	v_add_nc_u32_e32 v29, 0xfffffc10, v29
	v_cmp_ne_u32_e64 s6, 0, v19
	v_med3_i32 v31, v31, 0, 13
	s_delay_alu instid0(VALU_DEP_1) | instskip(NEXT) | instid1(VALU_DEP_1)
	v_lshrrev_b32_e32 v33, v31, v32
	v_lshlrev_b32_e32 v31, v31, v33
	s_delay_alu instid0(VALU_DEP_1)
	v_cmp_ne_u32_e64 s1, v31, v32
	v_lshl_or_b32 v32, v29, 12, v19
	v_cndmask_b32_e64 v19, 0, 1, s4
	v_cmp_gt_i32_e64 s4, 1, v24
	s_wait_alu 0xf1ff
	v_cndmask_b32_e64 v31, 0, 1, s1
	v_cmp_gt_i32_e64 s1, 1, v29
	v_or_b32_e32 v19, v28, v19
	v_lshl_or_b32 v28, v24, 12, v2
	s_delay_alu instid0(VALU_DEP_4) | instskip(NEXT) | instid1(VALU_DEP_2)
	v_or_b32_e32 v31, v33, v31
	v_cndmask_b32_e64 v19, v28, v19, s4
	s_wait_alu 0xf1ff
	s_delay_alu instid0(VALU_DEP_2) | instskip(NEXT) | instid1(VALU_DEP_1)
	v_cndmask_b32_e64 v31, v32, v31, s1
	v_and_b32_e32 v32, 7, v31
	v_lshrrev_b32_e32 v28, 2, v31
	v_cndmask_b32_e64 v31, 0, 1, s6
	s_delay_alu instid0(VALU_DEP_3) | instskip(SKIP_1) | instid1(VALU_DEP_3)
	v_cmp_lt_i32_e64 s1, 5, v32
	v_cmp_eq_u32_e64 s5, 3, v32
	v_lshl_or_b32 v31, v31, 9, 0x7c00
	s_delay_alu instid0(VALU_DEP_2)
	s_or_b32 s1, s5, s1
	v_cmp_ne_u32_e64 s5, 0, v2
	s_wait_alu 0xfffe
	v_add_co_ci_u32_e64 v28, s1, 0, v28, s1
	v_cmp_gt_i32_e64 s1, 31, v29
	v_lshrrev_b32_e32 v2, 2, v19
	s_wait_alu 0xf1ff
	s_delay_alu instid0(VALU_DEP_2) | instskip(SKIP_4) | instid1(VALU_DEP_3)
	v_cndmask_b32_e64 v28, 0x7c00, v28, s1
	v_cmp_eq_u32_e64 s1, 0x40f, v29
	v_and_b32_e32 v29, 7, v19
	v_cndmask_b32_e64 v19, 0, 1, s5
	s_wait_alu 0xf1ff
	v_cndmask_b32_e64 v28, v28, v31, s1
	s_delay_alu instid0(VALU_DEP_3) | instskip(SKIP_2) | instid1(VALU_DEP_2)
	v_cmp_lt_i32_e64 s1, 5, v29
	v_cmp_eq_u32_e64 s4, 3, v29
	v_lshl_or_b32 v19, v19, 9, 0x7c00
	s_or_b32 s1, s4, s1
	s_wait_alu 0xfffe
	v_add_co_ci_u32_e64 v2, s1, 0, v2, s1
	v_cmp_gt_i32_e64 s1, 31, v24
	s_wait_alu 0xf1ff
	s_delay_alu instid0(VALU_DEP_1) | instskip(SKIP_2) | instid1(VALU_DEP_1)
	v_cndmask_b32_e64 v2, 0x7c00, v2, s1
	v_cmp_eq_u32_e64 s1, 0x40f, v24
	s_wait_alu 0xf1ff
	v_cndmask_b32_e64 v2, v2, v19, s1
	v_and_or_b32 v19, 0x8000, v20, v28
	scratch_load_b32 v20, off, off offset:28 th:TH_LOAD_LU ; 4-byte Folded Reload
	v_and_or_b32 v2, 0x8000, v3, v2
	v_and_b32_e32 v3, 0xffff, v19
	s_delay_alu instid0(VALU_DEP_1)
	v_lshl_or_b32 v2, v2, 16, v3
	global_store_b32 v[11:12], v2, off
	v_add_co_u32 v2, s1, v11, s14
	s_wait_alu 0xf1ff
	v_add_co_ci_u32_e64 v3, s1, s15, v12, s1
	scratch_load_b32 v12, off, off offset:44 th:TH_LOAD_LU ; 4-byte Folded Reload
	v_lshrrev_b32_e32 v11, 16, v10
	s_wait_loadcnt 0x0
	s_delay_alu instid0(VALU_DEP_1) | instskip(SKIP_1) | instid1(VALU_DEP_2)
	v_mul_f16_e32 v19, v12, v11
	v_mul_f16_e32 v12, v12, v10
	v_fmac_f16_e32 v19, v20, v10
	v_cvt_f64_f32_e32 v[9:10], v9
	s_delay_alu instid0(VALU_DEP_3) | instskip(NEXT) | instid1(VALU_DEP_2)
	v_fma_f16 v24, v20, v11, -v12
	v_mul_f64_e32 v[9:10], s[10:11], v[9:10]
	s_delay_alu instid0(VALU_DEP_1) | instskip(SKIP_2) | instid1(VALU_DEP_3)
	v_and_or_b32 v9, 0x1ff, v10, v9
	v_lshrrev_b32_e32 v11, 8, v10
	v_bfe_u32 v29, v10, 20, 11
	v_cmp_ne_u32_e64 s1, 0, v9
	s_wait_alu 0xf1ff
	s_delay_alu instid0(VALU_DEP_1) | instskip(NEXT) | instid1(VALU_DEP_1)
	v_cndmask_b32_e64 v9, 0, 1, s1
	v_and_or_b32 v28, 0xffe, v11, v9
	v_sub_nc_u32_e32 v9, 0x3f1, v29
	s_delay_alu instid0(VALU_DEP_2) | instskip(NEXT) | instid1(VALU_DEP_2)
	v_or_b32_e32 v11, 0x1000, v28
	v_med3_i32 v9, v9, 0, 13
	s_delay_alu instid0(VALU_DEP_1) | instskip(NEXT) | instid1(VALU_DEP_1)
	v_lshrrev_b32_e32 v31, v9, v11
	v_lshlrev_b32_e32 v9, v9, v31
	s_delay_alu instid0(VALU_DEP_1) | instskip(SKIP_1) | instid1(VALU_DEP_1)
	v_cmp_ne_u32_e64 s4, v9, v11
	v_cvt_f32_f16_e32 v9, v22
	v_cvt_f64_f32_e32 v[11:12], v9
	s_delay_alu instid0(VALU_DEP_1) | instskip(NEXT) | instid1(VALU_DEP_1)
	v_mul_f64_e32 v[11:12], s[10:11], v[11:12]
	v_and_or_b32 v9, 0x1ff, v12, v11
	v_lshrrev_b32_e32 v11, 8, v12
	v_bfe_u32 v22, v12, 20, 11
	v_lshrrev_b32_e32 v12, 16, v12
	s_delay_alu instid0(VALU_DEP_4) | instskip(SKIP_1) | instid1(VALU_DEP_1)
	v_cmp_ne_u32_e64 s1, 0, v9
	s_wait_alu 0xf1ff
	v_cndmask_b32_e64 v9, 0, 1, s1
	s_delay_alu instid0(VALU_DEP_1) | instskip(SKIP_2) | instid1(VALU_DEP_3)
	v_and_or_b32 v11, 0xffe, v11, v9
	v_sub_nc_u32_e32 v9, 0x3f1, v22
	v_add_nc_u32_e32 v22, 0xfffffc10, v22
	v_or_b32_e32 v20, 0x1000, v11
	s_delay_alu instid0(VALU_DEP_3) | instskip(NEXT) | instid1(VALU_DEP_1)
	v_med3_i32 v9, v9, 0, 13
	v_lshrrev_b32_e32 v32, v9, v20
	s_delay_alu instid0(VALU_DEP_1) | instskip(NEXT) | instid1(VALU_DEP_1)
	v_lshlrev_b32_e32 v9, v9, v32
	v_cmp_ne_u32_e64 s5, v9, v20
	scratch_load_b32 v20, off, off offset:36 th:TH_LOAD_LU ; 4-byte Folded Reload
	v_lshrrev_b32_e32 v9, 16, v8
	s_wait_loadcnt 0x0
	s_delay_alu instid0(VALU_DEP_1) | instskip(SKIP_1) | instid1(VALU_DEP_2)
	v_mul_f16_e32 v33, v20, v9
	v_mul_f16_e32 v20, v20, v8
	v_fmac_f16_e32 v33, v34, v8
	v_cvt_f32_f16_e32 v8, v19
	s_delay_alu instid0(VALU_DEP_3) | instskip(NEXT) | instid1(VALU_DEP_2)
	v_fma_f16 v34, v34, v9, -v20
	v_cvt_f64_f32_e32 v[8:9], v8
	s_delay_alu instid0(VALU_DEP_1) | instskip(NEXT) | instid1(VALU_DEP_1)
	v_mul_f64_e32 v[8:9], s[10:11], v[8:9]
	v_and_or_b32 v8, 0x1ff, v9, v8
	v_lshrrev_b32_e32 v19, 8, v9
	v_bfe_u32 v35, v9, 20, 11
	s_delay_alu instid0(VALU_DEP_3) | instskip(SKIP_1) | instid1(VALU_DEP_1)
	v_cmp_ne_u32_e64 s1, 0, v8
	s_wait_alu 0xf1ff
	v_cndmask_b32_e64 v8, 0, 1, s1
	s_delay_alu instid0(VALU_DEP_1) | instskip(SKIP_1) | instid1(VALU_DEP_2)
	v_and_or_b32 v8, 0xffe, v19, v8
	v_sub_nc_u32_e32 v19, 0x3f1, v35
	v_or_b32_e32 v20, 0x1000, v8
	s_delay_alu instid0(VALU_DEP_2) | instskip(NEXT) | instid1(VALU_DEP_1)
	v_med3_i32 v19, v19, 0, 13
	v_lshrrev_b32_e32 v36, v19, v20
	s_delay_alu instid0(VALU_DEP_1) | instskip(NEXT) | instid1(VALU_DEP_1)
	v_lshlrev_b32_e32 v19, v19, v36
	v_cmp_ne_u32_e64 s1, v19, v20
	v_cvt_f32_f16_e32 v19, v23
	s_delay_alu instid0(VALU_DEP_1) | instskip(NEXT) | instid1(VALU_DEP_1)
	v_cvt_f64_f32_e32 v[19:20], v19
	v_mul_f64_e32 v[19:20], s[10:11], v[19:20]
	s_delay_alu instid0(VALU_DEP_1) | instskip(SKIP_1) | instid1(VALU_DEP_2)
	v_and_or_b32 v19, 0x1ff, v20, v19
	v_lshrrev_b32_e32 v23, 8, v20
	v_cmp_ne_u32_e64 s6, 0, v19
	s_wait_alu 0xf1ff
	s_delay_alu instid0(VALU_DEP_1) | instskip(NEXT) | instid1(VALU_DEP_1)
	v_cndmask_b32_e64 v19, 0, 1, s6
	v_and_or_b32 v19, 0xffe, v23, v19
	v_bfe_u32 v23, v20, 20, 11
	s_delay_alu instid0(VALU_DEP_2) | instskip(NEXT) | instid1(VALU_DEP_2)
	v_or_b32_e32 v38, 0x1000, v19
	v_sub_nc_u32_e32 v37, 0x3f1, v23
	v_add_nc_u32_e32 v23, 0xfffffc10, v23
	v_cmp_ne_u32_e64 s8, 0, v19
	s_delay_alu instid0(VALU_DEP_3) | instskip(NEXT) | instid1(VALU_DEP_1)
	v_med3_i32 v37, v37, 0, 13
	v_lshrrev_b32_e32 v39, v37, v38
	s_delay_alu instid0(VALU_DEP_1) | instskip(NEXT) | instid1(VALU_DEP_1)
	v_lshlrev_b32_e32 v37, v37, v39
	v_cmp_ne_u32_e64 s6, v37, v38
	v_lshl_or_b32 v38, v23, 12, v19
	v_cndmask_b32_e64 v19, 0, 1, s0
	s_wait_alu 0xf1ff
	s_delay_alu instid0(VALU_DEP_3) | instskip(SKIP_1) | instid1(VALU_DEP_3)
	v_cndmask_b32_e64 v37, 0, 1, s6
	v_cmp_gt_i32_e64 s6, 1, v23
	v_or_b32_e32 v19, v21, v19
	s_delay_alu instid0(VALU_DEP_3) | instskip(SKIP_1) | instid1(VALU_DEP_1)
	v_or_b32_e32 v37, v39, v37
	s_wait_alu 0xf1ff
	v_cndmask_b32_e64 v37, v38, v37, s6
	s_delay_alu instid0(VALU_DEP_1) | instskip(SKIP_3) | instid1(VALU_DEP_4)
	v_and_b32_e32 v38, 7, v37
	v_lshrrev_b32_e32 v21, 2, v37
	v_cndmask_b32_e64 v37, 0, 1, s8
	v_cmp_ne_u32_e64 s8, 0, v15
	v_cmp_lt_i32_e64 s6, 5, v38
	v_cmp_eq_u32_e64 s7, 3, v38
	s_delay_alu instid0(VALU_DEP_4) | instskip(NEXT) | instid1(VALU_DEP_2)
	v_lshl_or_b32 v37, v37, 9, 0x7c00
	s_or_b32 s0, s7, s6
	v_cmp_ne_u32_e64 s7, 0, v5
	s_wait_alu 0xfffe
	v_add_co_ci_u32_e64 v21, s0, 0, v21, s0
	v_cmp_gt_i32_e64 s0, 31, v23
	s_wait_alu 0xf1ff
	s_delay_alu instid0(VALU_DEP_1) | instskip(SKIP_4) | instid1(VALU_DEP_3)
	v_cndmask_b32_e64 v21, 0x7c00, v21, s0
	v_cmp_eq_u32_e64 s0, 0x40f, v23
	v_lshrrev_b32_e32 v23, 16, v20
	v_lshl_or_b32 v20, v13, 12, v5
	s_wait_alu 0xf1ff
	v_cndmask_b32_e64 v21, v21, v37, s0
	v_cmp_gt_i32_e64 s0, 1, v13
	s_delay_alu instid0(VALU_DEP_2) | instskip(SKIP_1) | instid1(VALU_DEP_2)
	v_and_or_b32 v21, 0x8000, v23, v21
	s_wait_alu 0xf1ff
	v_cndmask_b32_e64 v37, v20, v19, s0
	v_cvt_f32_f16_e32 v19, v24
	s_delay_alu instid0(VALU_DEP_3) | instskip(NEXT) | instid1(VALU_DEP_3)
	v_and_b32_e32 v21, 0xffff, v21
	v_and_b32_e32 v23, 7, v37
	s_delay_alu instid0(VALU_DEP_3) | instskip(SKIP_1) | instid1(VALU_DEP_3)
	v_cvt_f64_f32_e32 v[19:20], v19
	v_lshrrev_b32_e32 v5, 2, v37
	v_cmp_eq_u32_e64 s6, 3, v23
	s_delay_alu instid0(VALU_DEP_3) | instskip(NEXT) | instid1(VALU_DEP_1)
	v_mul_f64_e32 v[19:20], s[10:11], v[19:20]
	v_and_or_b32 v19, 0x1ff, v20, v19
	v_lshrrev_b32_e32 v24, 8, v20
	s_delay_alu instid0(VALU_DEP_2) | instskip(SKIP_1) | instid1(VALU_DEP_1)
	v_cmp_ne_u32_e64 s0, 0, v19
	s_wait_alu 0xf1ff
	v_cndmask_b32_e64 v19, 0, 1, s0
	v_cmp_lt_i32_e64 s0, 5, v23
	v_cndmask_b32_e64 v23, 0, 1, s7
	s_delay_alu instid0(VALU_DEP_3) | instskip(NEXT) | instid1(VALU_DEP_3)
	v_and_or_b32 v19, 0xffe, v24, v19
	s_or_b32 s0, s6, s0
	s_delay_alu instid0(VALU_DEP_2) | instskip(SKIP_4) | instid1(VALU_DEP_1)
	v_lshl_or_b32 v23, v23, 9, 0x7c00
	s_wait_alu 0xfffe
	v_add_co_ci_u32_e64 v5, s0, 0, v5, s0
	v_cmp_gt_i32_e64 s0, 31, v13
	s_wait_alu 0xf1ff
	v_cndmask_b32_e64 v5, 0x7c00, v5, s0
	v_cmp_eq_u32_e64 s0, 0x40f, v13
	v_lshrrev_b32_e32 v13, 16, v14
	v_cndmask_b32_e64 v14, 0, 1, s2
	s_wait_alu 0xf1ff
	s_delay_alu instid0(VALU_DEP_3) | instskip(NEXT) | instid1(VALU_DEP_2)
	v_cndmask_b32_e64 v5, v5, v23, s0
	v_or_b32_e32 v14, v26, v14
	s_delay_alu instid0(VALU_DEP_2) | instskip(SKIP_1) | instid1(VALU_DEP_2)
	v_and_or_b32 v5, 0x8000, v13, v5
	v_add_nc_u32_e32 v13, 0xfffffc10, v25
	v_lshl_or_b32 v5, v5, 16, v21
	s_delay_alu instid0(VALU_DEP_2)
	v_lshl_or_b32 v23, v13, 12, v0
	v_cmp_gt_i32_e64 s0, 1, v13
	v_cndmask_b32_e64 v21, 0, 1, s3
	v_cmp_ne_u32_e64 s3, 0, v0
	global_store_b32 v[2:3], v5, off
	s_wait_alu 0xf1ff
	v_cndmask_b32_e64 v14, v23, v14, s0
	v_add_nc_u32_e32 v23, 0xfffffc10, v27
	v_or_b32_e32 v21, v30, v21
	v_add_nc_u32_e32 v30, 0xfffffc10, v35
	s_delay_alu instid0(VALU_DEP_3) | instskip(SKIP_2) | instid1(VALU_DEP_1)
	v_lshl_or_b32 v24, v23, 12, v15
	v_cmp_gt_i32_e64 s0, 1, v23
	s_wait_alu 0xf1ff
	v_cndmask_b32_e64 v21, v24, v21, s0
	v_and_b32_e32 v24, 7, v14
	s_delay_alu instid0(VALU_DEP_2) | instskip(NEXT) | instid1(VALU_DEP_2)
	v_and_b32_e32 v0, 7, v21
	v_cmp_lt_i32_e64 s0, 5, v24
	v_cmp_eq_u32_e64 s2, 3, v24
	v_cvt_f32_f16_e32 v24, v33
	s_delay_alu instid0(VALU_DEP_4)
	v_cmp_lt_i32_e64 s6, 5, v0
	v_cmp_eq_u32_e64 s7, 3, v0
	v_lshrrev_b32_e32 v0, 2, v14
	s_or_b32 s0, s2, s0
	v_cndmask_b32_e64 v14, 0, 1, s3
	s_wait_alu 0xfffe
	s_delay_alu instid0(VALU_DEP_2) | instskip(SKIP_1) | instid1(VALU_DEP_3)
	v_add_co_ci_u32_e64 v0, s0, 0, v0, s0
	v_cmp_gt_i32_e64 s0, 31, v13
	v_lshl_or_b32 v14, v14, 9, 0x7c00
	s_wait_alu 0xf1ff
	s_delay_alu instid0(VALU_DEP_2) | instskip(SKIP_3) | instid1(VALU_DEP_2)
	v_cndmask_b32_e64 v0, 0x7c00, v0, s0
	v_cmp_eq_u32_e64 s0, 0x40f, v13
	v_lshrrev_b32_e32 v13, 2, v21
	s_wait_alu 0xf1ff
	v_cndmask_b32_e64 v0, v0, v14, s0
	s_or_b32 s0, s7, s6
	v_cndmask_b32_e64 v14, 0, 1, s8
	s_wait_alu 0xfffe
	v_add_co_ci_u32_e64 v13, s0, 0, v13, s0
	v_cmp_gt_i32_e64 s0, 31, v23
	s_delay_alu instid0(VALU_DEP_3) | instskip(SKIP_1) | instid1(VALU_DEP_2)
	v_lshl_or_b32 v14, v14, 9, 0x7c00
	s_wait_alu 0xf1ff
	v_cndmask_b32_e64 v13, 0x7c00, v13, s0
	v_cmp_eq_u32_e64 s0, 0x40f, v23
	v_lshl_or_b32 v23, v22, 12, v11
	s_wait_alu 0xf1ff
	s_delay_alu instid0(VALU_DEP_2) | instskip(SKIP_3) | instid1(VALU_DEP_3)
	v_cndmask_b32_e64 v15, v13, v14, s0
	v_cndmask_b32_e64 v13, 0, 1, s4
	v_add_nc_u32_e32 v14, 0xfffffc10, v29
	v_cndmask_b32_e64 v29, 0, 1, s1
	v_or_b32_e32 v13, v31, v13
	s_delay_alu instid0(VALU_DEP_3) | instskip(SKIP_3) | instid1(VALU_DEP_2)
	v_lshl_or_b32 v21, v14, 12, v28
	v_cmp_gt_i32_e64 s0, 1, v14
	v_cmp_gt_i32_e64 s3, 31, v14
	s_wait_alu 0xf1ff
	v_cndmask_b32_e64 v13, v21, v13, s0
	v_cndmask_b32_e64 v21, 0, 1, s5
	v_cmp_gt_i32_e64 s0, 1, v22
	s_delay_alu instid0(VALU_DEP_2) | instskip(SKIP_1) | instid1(VALU_DEP_1)
	v_or_b32_e32 v21, v32, v21
	s_wait_alu 0xf1ff
	v_cndmask_b32_e64 v21, v23, v21, s0
	v_and_b32_e32 v23, 7, v13
	v_lshrrev_b32_e32 v13, 2, v13
	s_delay_alu instid0(VALU_DEP_3) | instskip(NEXT) | instid1(VALU_DEP_3)
	v_and_b32_e32 v25, 7, v21
	v_cmp_lt_i32_e64 s0, 5, v23
	v_cmp_eq_u32_e64 s2, 3, v23
	v_and_or_b32 v23, 0x8000, v1, v0
	v_cvt_f64_f32_e32 v[0:1], v24
	s_delay_alu instid0(VALU_DEP_3)
	s_or_b32 s0, s2, s0
	v_cmp_eq_u32_e64 s2, 3, v25
	s_wait_alu 0xfffe
	v_add_co_ci_u32_e64 v13, s0, 0, v13, s0
	v_cmp_ne_u32_e64 s0, 0, v28
	v_lshrrev_b32_e32 v28, 16, v10
	s_delay_alu instid0(VALU_DEP_3)
	v_cndmask_b32_e64 v13, 0x7c00, v13, s3
	v_cmp_eq_u32_e64 s3, 0x40f, v14
	s_wait_alu 0xf1ff
	v_cndmask_b32_e64 v24, 0, 1, s0
	v_cmp_lt_i32_e64 s0, 5, v25
	v_bfe_u32 v25, v20, 20, 11
	v_lshrrev_b32_e32 v20, 16, v20
	s_delay_alu instid0(VALU_DEP_4) | instskip(NEXT) | instid1(VALU_DEP_4)
	v_lshl_or_b32 v24, v24, 9, 0x7c00
	s_or_b32 s0, s2, s0
	s_delay_alu instid0(VALU_DEP_3) | instskip(NEXT) | instid1(VALU_DEP_2)
	v_sub_nc_u32_e32 v14, 0x3f1, v25
	v_cndmask_b32_e64 v24, v13, v24, s3
	v_lshrrev_b32_e32 v13, 2, v21
	s_delay_alu instid0(VALU_DEP_3)
	v_med3_i32 v26, v14, 0, 13
	v_cvt_f32_f16_e32 v14, v34
	v_or_b32_e32 v21, 0x1000, v19
	v_and_or_b32 v24, 0x8000, v28, v24
	s_wait_alu 0xfffe
	v_add_co_ci_u32_e64 v13, s0, 0, v13, s0
	v_cmp_ne_u32_e64 s0, 0, v11
	v_cvt_f64_f32_e32 v[10:11], v14
	scratch_load_b32 v28, off, off offset:20 th:TH_LOAD_LU ; 4-byte Folded Reload
	s_wait_alu 0xf1ff
	v_cndmask_b32_e64 v27, 0, 1, s0
	v_cmp_gt_i32_e64 s0, 31, v22
	s_delay_alu instid0(VALU_DEP_2) | instskip(SKIP_1) | instid1(VALU_DEP_2)
	v_lshl_or_b32 v14, v27, 9, 0x7c00
	s_wait_alu 0xf1ff
	v_cndmask_b32_e64 v13, 0x7c00, v13, s0
	v_cmp_eq_u32_e64 s0, 0x40f, v22
	v_lshrrev_b32_e32 v22, v26, v21
	s_wait_alu 0xf1ff
	s_delay_alu instid0(VALU_DEP_2)
	v_cndmask_b32_e64 v27, v13, v14, s0
	v_mul_f64_e32 v[13:14], s[10:11], v[0:1]
	v_or_b32_e32 v0, v36, v29
	v_lshl_or_b32 v1, v30, 12, v8
	v_cmp_gt_i32_e64 s0, 1, v30
	v_and_or_b32 v12, 0x8000, v12, v27
	scratch_load_b32 v27, off, off offset:16 th:TH_LOAD_LU ; 4-byte Folded Reload
	v_lshlrev_b32_e32 v26, v26, v22
	s_wait_alu 0xf1ff
	v_cndmask_b32_e64 v0, v1, v0, s0
	v_and_or_b32 v1, 0x8000, v16, v15
	v_and_b32_e32 v15, 0xffff, v23
	v_cmp_ne_u32_e64 s1, v26, v21
	v_add_nc_u32_e32 v21, 0xfffffc10, v25
	v_and_b32_e32 v23, 7, v0
	v_lshrrev_b32_e32 v0, 2, v0
	v_lshl_or_b32 v5, v1, 16, v15
	s_wait_alu 0xf1ff
	v_cndmask_b32_e64 v1, 0, 1, s1
	v_and_b32_e32 v16, 0xffff, v24
	v_cmp_lt_i32_e64 s0, 5, v23
	v_cmp_eq_u32_e64 s1, 3, v23
	v_lshrrev_b32_e32 v15, 16, v7
	v_or_b32_e32 v1, v22, v1
	v_lshl_or_b32 v22, v21, 12, v19
	v_lshl_or_b32 v16, v12, 16, v16
	s_or_b32 s0, s1, s0
	v_mul_f64_e32 v[10:11], s[10:11], v[10:11]
	s_wait_alu 0xfffe
	v_add_co_ci_u32_e64 v0, s0, 0, v0, s0
	v_cmp_ne_u32_e64 s0, 0, v8
	s_wait_alu 0xf1ff
	s_delay_alu instid0(VALU_DEP_1) | instskip(SKIP_1) | instid1(VALU_DEP_2)
	v_cndmask_b32_e64 v8, 0, 1, s0
	v_cmp_gt_i32_e64 s0, 1, v21
	v_lshl_or_b32 v8, v8, 9, 0x7c00
	s_wait_alu 0xf1ff
	s_delay_alu instid0(VALU_DEP_2) | instskip(SKIP_3) | instid1(VALU_DEP_4)
	v_cndmask_b32_e64 v22, v22, v1, s0
	v_and_or_b32 v1, 0x1ff, v14, v13
	v_cmp_gt_i32_e64 s0, 31, v30
	v_bfe_u32 v25, v14, 20, 11
	v_and_b32_e32 v23, 7, v22
	s_delay_alu instid0(VALU_DEP_4)
	v_cmp_ne_u32_e64 s1, 0, v1
	s_wait_alu 0xf1ff
	v_cndmask_b32_e64 v0, 0x7c00, v0, s0
	v_cmp_eq_u32_e64 s0, 0x40f, v30
	v_lshrrev_b32_e32 v1, 8, v14
	v_lshrrev_b32_e32 v14, 16, v14
	s_wait_alu 0xf1ff
	s_delay_alu instid0(VALU_DEP_3)
	v_cndmask_b32_e64 v24, v0, v8, s0
	v_cmp_lt_i32_e64 s0, 5, v23
	v_cndmask_b32_e64 v0, 0, 1, s1
	v_cmp_eq_u32_e64 s1, 3, v23
	v_lshrrev_b32_e32 v23, 16, v9
	v_sub_nc_u32_e32 v8, 0x3f1, v25
	s_delay_alu instid0(VALU_DEP_4) | instskip(SKIP_1) | instid1(VALU_DEP_4)
	v_and_or_b32 v26, 0xffe, v1, v0
	v_mad_co_u64_u32 v[0:1], null, 0x6c0, s12, v[2:3]
	v_and_or_b32 v23, 0x8000, v23, v24
	scratch_load_b32 v24, off, off offset:8 th:TH_LOAD_LU ; 4-byte Folded Reload
	v_lshrrev_b32_e32 v2, 2, v22
	s_or_b32 s0, s1, s0
	v_or_b32_e32 v3, 0x1000, v26
	v_med3_i32 v8, v8, 0, 13
	v_and_or_b32 v9, 0x1ff, v11, v10
	s_wait_alu 0xfffe
	v_add_co_ci_u32_e64 v2, s0, 0, v2, s0
	v_cmp_ne_u32_e64 s0, 0, v19
	v_lshrrev_b32_e32 v19, v8, v3
	v_add_nc_u32_e32 v1, s9, v1
	s_wait_alu 0xf1ff
	s_delay_alu instid0(VALU_DEP_3) | instskip(SKIP_1) | instid1(VALU_DEP_2)
	v_cndmask_b32_e64 v10, 0, 1, s0
	v_cmp_gt_i32_e64 s0, 31, v21
	v_lshl_or_b32 v22, v10, 9, 0x7c00
	s_wait_alu 0xf1ff
	s_delay_alu instid0(VALU_DEP_2) | instskip(SKIP_4) | instid1(VALU_DEP_1)
	v_cndmask_b32_e64 v2, 0x7c00, v2, s0
	v_cmp_ne_u32_e64 s0, 0, v9
	s_wait_loadcnt 0x2
	v_mul_f16_e32 v12, v28, v15
	s_wait_loadcnt 0x1
	v_fmac_f16_e32 v12, v27, v7
	v_mul_f16_e32 v7, v28, v7
	scratch_load_b32 v28, off, off offset:12 th:TH_LOAD_LU ; 4-byte Folded Reload
	global_store_b32 v[17:18], v5, off
	global_store_b32 v[0:1], v16, off
	v_cvt_f32_f16_e32 v12, v12
	v_fma_f16 v15, v27, v15, -v7
	v_lshlrev_b32_e32 v27, v8, v19
	s_delay_alu instid0(VALU_DEP_3) | instskip(NEXT) | instid1(VALU_DEP_3)
	v_cvt_f64_f32_e32 v[12:13], v12
	v_cvt_f32_f16_e32 v10, v15
	v_bfe_u32 v15, v11, 20, 11
	s_delay_alu instid0(VALU_DEP_2) | instskip(NEXT) | instid1(VALU_DEP_4)
	v_cvt_f64_f32_e32 v[9:10], v10
	v_mul_f64_e32 v[7:8], s[10:11], v[12:13]
	s_wait_alu 0xf1ff
	v_cndmask_b32_e64 v12, 0, 1, s0
	v_cmp_eq_u32_e64 s0, 0x40f, v21
	v_lshrrev_b32_e32 v13, 8, v11
	v_lshrrev_b32_e32 v11, 16, v11
	v_mul_f64_e32 v[9:10], s[10:11], v[9:10]
	s_wait_alu 0xf1ff
	v_cndmask_b32_e64 v2, v2, v22, s0
	v_cmp_ne_u32_e64 s0, v27, v3
	v_add_nc_u32_e32 v22, 0xfffffc10, v25
	v_lshrrev_b32_e32 v25, 16, v4
	v_and_or_b32 v21, 0xffe, v13, v12
	v_sub_nc_u32_e32 v12, 0x3f1, v15
	s_wait_alu 0xf1ff
	v_cndmask_b32_e64 v3, 0, 1, s0
	v_cmp_gt_i32_e64 s0, 1, v22
	v_and_or_b32 v2, 0x8000, v20, v2
	v_or_b32_e32 v13, 0x1000, v21
	v_med3_i32 v12, v12, 0, 13
	v_or_b32_e32 v3, v19, v3
	v_lshl_or_b32 v19, v22, 12, v26
	v_and_b32_e32 v20, 0xffff, v23
	v_add_nc_u32_e32 v15, 0xfffffc10, v15
	v_lshrrev_b32_e32 v27, v12, v13
	s_wait_alu 0xf1ff
	v_cndmask_b32_e64 v3, v19, v3, s0
	v_lshl_or_b32 v2, v2, 16, v20
	s_delay_alu instid0(VALU_DEP_3) | instskip(NEXT) | instid1(VALU_DEP_3)
	v_lshlrev_b32_e32 v12, v12, v27
	v_and_b32_e32 v23, 7, v3
	v_lshrrev_b32_e32 v3, 2, v3
	s_delay_alu instid0(VALU_DEP_3) | instskip(NEXT) | instid1(VALU_DEP_3)
	v_cmp_ne_u32_e64 s1, v12, v13
	v_cmp_lt_i32_e64 s0, 5, v23
	s_wait_alu 0xf1ff
	s_delay_alu instid0(VALU_DEP_2) | instskip(SKIP_3) | instid1(VALU_DEP_3)
	v_cndmask_b32_e64 v16, 0, 1, s1
	v_cmp_eq_u32_e64 s1, 3, v23
	v_lshrrev_b32_e32 v17, 8, v8
	v_bfe_u32 v18, v8, 20, 11
	s_or_b32 s0, s1, s0
	v_and_or_b32 v9, 0x1ff, v10, v9
	s_wait_alu 0xfffe
	v_add_co_ci_u32_e64 v3, s0, 0, v3, s0
	v_cmp_gt_i32_e64 s0, 1, v15
	s_wait_loadcnt 0x0
	v_mul_f16_e32 v19, v28, v25
	s_delay_alu instid0(VALU_DEP_1) | instskip(SKIP_1) | instid1(VALU_DEP_2)
	v_fmac_f16_e32 v19, v24, v4
	v_mul_f16_e32 v4, v28, v4
	v_cvt_f32_f16_e32 v5, v19
	s_delay_alu instid0(VALU_DEP_2)
	v_fma_f16 v4, v24, v25, -v4
	s_clause 0x1
	scratch_load_b32 v25, off, off offset:4 th:TH_LOAD_LU
	scratch_load_b32 v24, off, off th:TH_LOAD_LU
	v_cvt_f64_f32_e32 v[12:13], v5
	v_and_or_b32 v5, 0x1ff, v8, v7
	v_or_b32_e32 v7, v27, v16
	v_lshl_or_b32 v16, v15, 12, v21
	s_delay_alu instid0(VALU_DEP_3) | instskip(SKIP_1) | instid1(VALU_DEP_2)
	v_cmp_ne_u32_e64 s2, 0, v5
	s_wait_alu 0xf1ff
	v_cndmask_b32_e64 v7, v16, v7, s0
	v_cmp_ne_u32_e64 s0, 0, v26
	v_sub_nc_u32_e32 v16, 0x3f1, v18
	v_cndmask_b32_e64 v5, 0, 1, s2
	v_cmp_eq_u32_e64 s2, 0x40f, v22
	v_and_b32_e32 v19, 7, v7
	v_lshrrev_b32_e32 v7, 2, v7
	v_med3_i32 v16, v16, 0, 13
	v_and_or_b32 v5, 0xffe, v17, v5
	s_wait_alu 0xf1ff
	v_cndmask_b32_e64 v17, 0, 1, s0
	v_cmp_gt_i32_e64 s0, 31, v22
	v_cmp_eq_u32_e64 s1, 3, v19
	v_add_nc_u32_e32 v18, 0xfffffc10, v18
	v_or_b32_e32 v20, 0x1000, v5
	v_lshl_or_b32 v17, v17, 9, 0x7c00
	s_wait_alu 0xf1ff
	v_cndmask_b32_e64 v3, 0x7c00, v3, s0
	v_cmp_lt_i32_e64 s0, 5, v19
	v_lshl_or_b32 v19, v18, 12, v5
	v_lshrrev_b32_e32 v23, v16, v20
	s_delay_alu instid0(VALU_DEP_4) | instskip(NEXT) | instid1(VALU_DEP_4)
	v_cndmask_b32_e64 v3, v3, v17, s2
	s_or_b32 s0, s1, s0
	s_wait_alu 0xfffe
	v_add_co_ci_u32_e64 v7, s0, 0, v7, s0
	v_lshlrev_b32_e32 v16, v16, v23
	v_cmp_ne_u32_e64 s0, 0, v21
	v_and_or_b32 v14, 0x8000, v14, v3
	v_cvt_f32_f16_e32 v3, v4
	v_lshrrev_b32_e32 v21, 16, v6
	v_mul_f64_e32 v[12:13], s[10:11], v[12:13]
	s_wait_alu 0xf1ff
	v_cndmask_b32_e64 v17, 0, 1, s0
	v_cmp_ne_u32_e64 s0, v16, v20
	v_cvt_f64_f32_e32 v[3:4], v3
	v_bfe_u32 v20, v10, 20, 11
	s_delay_alu instid0(VALU_DEP_4) | instskip(SKIP_3) | instid1(VALU_DEP_2)
	v_lshl_or_b32 v17, v17, 9, 0x7c00
	s_wait_alu 0xf1ff
	v_cndmask_b32_e64 v16, 0, 1, s0
	v_cmp_gt_i32_e64 s0, 31, v15
	v_or_b32_e32 v16, v23, v16
	s_wait_alu 0xf1ff
	s_delay_alu instid0(VALU_DEP_2) | instskip(SKIP_2) | instid1(VALU_DEP_1)
	v_cndmask_b32_e64 v7, 0x7c00, v7, s0
	v_cmp_gt_i32_e64 s0, 1, v18
	s_wait_alu 0xf1ff
	v_cndmask_b32_e64 v16, v19, v16, s0
	v_cmp_ne_u32_e64 s0, 0, v9
	v_lshrrev_b32_e32 v19, 8, v10
	v_lshrrev_b32_e32 v10, 16, v10
	s_wait_alu 0xf1ff
	s_delay_alu instid0(VALU_DEP_3) | instskip(SKIP_2) | instid1(VALU_DEP_3)
	v_cndmask_b32_e64 v9, 0, 1, s0
	v_cmp_eq_u32_e64 s0, 0x40f, v15
	v_and_b32_e32 v15, 7, v16
	v_and_or_b32 v9, 0xffe, v19, v9
	s_wait_alu 0xf1ff
	s_delay_alu instid0(VALU_DEP_3)
	v_cndmask_b32_e64 v7, v7, v17, s0
	v_sub_nc_u32_e32 v17, 0x3f1, v20
	v_cmp_lt_i32_e64 s0, 5, v15
	v_cmp_eq_u32_e64 s1, 3, v15
	v_or_b32_e32 v22, 0x1000, v9
	v_and_or_b32 v7, 0x8000, v11, v7
	v_lshrrev_b32_e32 v11, 2, v16
	v_med3_i32 v17, v17, 0, 13
	s_or_b32 s0, s1, s0
	v_add_nc_u32_e32 v20, 0xfffffc10, v20
	v_mul_f64_e32 v[3:4], s[10:11], v[3:4]
	s_wait_alu 0xfffe
	v_add_co_ci_u32_e64 v23, s0, 0, v11, s0
	v_lshrrev_b32_e32 v15, v17, v22
	v_cmp_ne_u32_e64 s0, 0, v5
	s_delay_alu instid0(VALU_DEP_2) | instskip(SKIP_4) | instid1(VALU_DEP_1)
	v_lshlrev_b32_e32 v17, v17, v15
	v_and_or_b32 v3, 0x1ff, v4, v3
	s_wait_loadcnt 0x1
	v_mul_f16_e32 v19, v25, v21
	s_wait_loadcnt 0x0
	v_fmac_f16_e32 v19, v24, v6
	v_mul_f16_e32 v6, v25, v6
	v_and_b32_e32 v25, 0xffff, v14
	s_delay_alu instid0(VALU_DEP_3) | instskip(SKIP_1) | instid1(VALU_DEP_4)
	v_cvt_f32_f16_e32 v16, v19
	v_and_or_b32 v19, 0x1ff, v13, v12
	v_fma_f16 v6, v24, v21, -v6
	v_bfe_u32 v21, v13, 20, 11
	v_lshl_or_b32 v25, v7, 16, v25
	v_cvt_f64_f32_e32 v[11:12], v16
	s_wait_alu 0xf1ff
	v_cndmask_b32_e64 v16, 0, 1, s0
	v_cmp_ne_u32_e64 s0, 0, v19
	v_lshrrev_b32_e32 v19, 8, v13
	v_lshrrev_b32_e32 v13, 16, v13
	s_delay_alu instid0(VALU_DEP_4) | instskip(SKIP_4) | instid1(VALU_DEP_3)
	v_lshl_or_b32 v16, v16, 9, 0x7c00
	s_wait_alu 0xf1ff
	v_cndmask_b32_e64 v5, 0, 1, s0
	v_cmp_ne_u32_e64 s0, v17, v22
	v_sub_nc_u32_e32 v22, 0x3f1, v21
	v_and_or_b32 v19, 0xffe, v19, v5
	s_wait_alu 0xf1ff
	s_delay_alu instid0(VALU_DEP_3)
	v_cndmask_b32_e64 v17, 0, 1, s0
	v_cvt_f32_f16_e32 v5, v6
	v_cmp_gt_i32_e64 s0, 31, v18
	v_med3_i32 v22, v22, 0, 13
	v_or_b32_e32 v24, 0x1000, v19
	v_or_b32_e32 v15, v15, v17
	v_lshl_or_b32 v17, v20, 12, v9
	v_cvt_f64_f32_e32 v[5:6], v5
	s_wait_alu 0xf1ff
	v_cndmask_b32_e64 v23, 0x7c00, v23, s0
	v_cmp_gt_i32_e64 s0, 1, v20
	v_lshrrev_b32_e32 v26, v22, v24
	s_wait_alu 0xf1ff
	s_delay_alu instid0(VALU_DEP_2) | instskip(SKIP_3) | instid1(VALU_DEP_3)
	v_cndmask_b32_e64 v17, v17, v15, s0
	v_add_co_u32 v14, s0, v0, s14
	s_wait_alu 0xf1ff
	v_add_co_ci_u32_e64 v15, s0, s15, v1, s0
	v_and_b32_e32 v0, 7, v17
	v_cmp_eq_u32_e64 s0, 0x40f, v18
	v_lshrrev_b32_e32 v7, 2, v17
	v_lshlrev_b32_e32 v22, v22, v26
	v_lshrrev_b32_e32 v18, 16, v8
	v_cmp_eq_u32_e64 s1, 3, v0
	s_wait_alu 0xf1ff
	v_cndmask_b32_e64 v16, v23, v16, s0
	v_cmp_lt_i32_e64 s0, 5, v0
	v_mul_f64_e32 v[0:1], s[10:11], v[11:12]
	v_cmp_ne_u32_e64 s2, v22, v24
	v_add_nc_u32_e32 v11, 0xfffffc10, v21
	v_bfe_u32 v22, v4, 20, 11
	s_or_b32 s0, s1, s0
	v_and_or_b32 v16, 0x8000, v18, v16
	s_wait_alu 0xfffe
	v_add_co_ci_u32_e64 v7, s0, 0, v7, s0
	v_cmp_ne_u32_e64 s0, 0, v9
	v_cndmask_b32_e64 v8, 0, 1, s2
	v_lshl_or_b32 v17, v11, 12, v19
	v_and_b32_e32 v16, 0xffff, v16
	s_wait_alu 0xf1ff
	v_cndmask_b32_e64 v9, 0, 1, s0
	v_cmp_gt_i32_e64 s0, 31, v20
	v_or_b32_e32 v12, v26, v8
	v_mul_f64_e32 v[5:6], s[10:11], v[5:6]
	s_wait_alu 0xf1ff
	s_delay_alu instid0(VALU_DEP_3)
	v_cndmask_b32_e64 v21, 0x7c00, v7, s0
	v_add_co_u32 v7, s0, v14, s14
	s_wait_alu 0xf1ff
	v_add_co_ci_u32_e64 v8, s0, s15, v15, s0
	v_cmp_gt_i32_e64 s0, 1, v11
	v_lshl_or_b32 v9, v9, 9, 0x7c00
	s_wait_alu 0xf1ff
	s_delay_alu instid0(VALU_DEP_2) | instskip(SKIP_4) | instid1(VALU_DEP_3)
	v_cndmask_b32_e64 v12, v17, v12, s0
	v_cmp_ne_u32_e64 s0, 0, v3
	v_lshrrev_b32_e32 v17, 8, v4
	v_lshrrev_b32_e32 v4, 16, v4
	s_wait_alu 0xf1ff
	v_cndmask_b32_e64 v3, 0, 1, s0
	v_cmp_eq_u32_e64 s0, 0x40f, v20
	v_and_b32_e32 v20, 7, v12
	v_lshrrev_b32_e32 v12, 2, v12
	v_and_or_b32 v0, 0x1ff, v1, v0
	v_and_or_b32 v3, 0xffe, v17, v3
	s_wait_alu 0xf1ff
	v_cndmask_b32_e64 v9, v21, v9, s0
	v_sub_nc_u32_e32 v17, 0x3f1, v22
	v_cmp_lt_i32_e64 s0, 5, v20
	v_cmp_eq_u32_e64 s1, 3, v20
	v_lshrrev_b32_e32 v20, 8, v1
	v_and_or_b32 v9, 0x8000, v10, v9
	v_or_b32_e32 v10, 0x1000, v3
	v_med3_i32 v17, v17, 0, 13
	s_or_b32 s0, s1, s0
	v_bfe_u32 v21, v1, 20, 11
	s_wait_alu 0xfffe
	v_add_co_ci_u32_e64 v12, s0, 0, v12, s0
	v_lshrrev_b32_e32 v18, v17, v10
	v_cmp_ne_u32_e64 s0, 0, v0
	v_lshrrev_b32_e32 v1, 16, v1
	v_and_or_b32 v5, 0x1ff, v6, v5
	v_lshrrev_b32_e32 v23, 8, v6
	v_lshlrev_b32_e32 v17, v17, v18
	s_wait_alu 0xf1ff
	v_cndmask_b32_e64 v0, 0, 1, s0
	v_cmp_ne_u32_e64 s0, 0, v19
	v_bfe_u32 v24, v6, 20, 11
	v_lshl_or_b32 v9, v9, 16, v16
	s_delay_alu instid0(VALU_DEP_4)
	v_and_or_b32 v0, 0xffe, v20, v0
	s_wait_alu 0xf1ff
	v_cndmask_b32_e64 v19, 0, 1, s0
	v_cmp_ne_u32_e64 s0, v17, v10
	v_sub_nc_u32_e32 v20, 0x3f1, v21
	v_add_nc_u32_e32 v17, 0xfffffc10, v22
	v_or_b32_e32 v22, 0x1000, v0
	s_wait_alu 0xf1ff
	v_cndmask_b32_e64 v10, 0, 1, s0
	v_cmp_gt_i32_e64 s0, 31, v11
	v_med3_i32 v20, v20, 0, 13
	s_delay_alu instid0(VALU_DEP_3) | instskip(SKIP_1) | instid1(VALU_DEP_3)
	v_or_b32_e32 v10, v18, v10
	s_wait_alu 0xf1ff
	v_cndmask_b32_e64 v12, 0x7c00, v12, s0
	v_cmp_ne_u32_e64 s0, 0, v5
	v_lshl_or_b32 v18, v17, 12, v3
	v_lshrrev_b32_e32 v26, v20, v22
	s_wait_alu 0xf1ff
	s_delay_alu instid0(VALU_DEP_3) | instskip(SKIP_1) | instid1(VALU_DEP_2)
	v_cndmask_b32_e64 v5, 0, 1, s0
	v_cmp_gt_i32_e64 s0, 1, v17
	v_and_or_b32 v5, 0xffe, v23, v5
	v_sub_nc_u32_e32 v23, 0x3f1, v24
	s_wait_alu 0xf1ff
	s_delay_alu instid0(VALU_DEP_3)
	v_cndmask_b32_e64 v10, v18, v10, s0
	v_lshl_or_b32 v18, v19, 9, 0x7c00
	v_lshlrev_b32_e32 v19, v20, v26
	v_cmp_eq_u32_e64 s0, 0x40f, v11
	v_or_b32_e32 v20, 0x1000, v5
	v_med3_i32 v23, v23, 0, 13
	v_and_b32_e32 v27, 7, v10
	v_lshrrev_b32_e32 v10, 2, v10
	s_wait_alu 0xf1ff
	v_cndmask_b32_e64 v11, v12, v18, s0
	v_cmp_ne_u32_e64 s0, v19, v22
	v_add_nc_u32_e32 v18, 0xfffffc10, v21
	v_lshrrev_b32_e32 v19, v23, v20
	v_cmp_eq_u32_e64 s1, 3, v27
	v_and_or_b32 v11, 0x8000, v13, v11
	s_wait_alu 0xf1ff
	v_cndmask_b32_e64 v12, 0, 1, s0
	v_lshl_or_b32 v21, v18, 12, v0
	v_lshlrev_b32_e32 v22, v23, v19
	v_cmp_gt_i32_e64 s2, 1, v18
	v_cmp_lt_i32_e64 s0, 5, v27
	v_or_b32_e32 v12, v26, v12
	v_and_b32_e32 v11, 0xffff, v11
	s_delay_alu instid0(VALU_DEP_3) | instskip(NEXT) | instid1(VALU_DEP_2)
	s_or_b32 s0, s1, s0
	v_cndmask_b32_e64 v12, v21, v12, s2
	v_cmp_ne_u32_e64 s2, v22, v20
	v_add_nc_u32_e32 v21, 0xfffffc10, v24
	s_wait_alu 0xfffe
	v_add_co_ci_u32_e64 v10, s0, 0, v10, s0
	v_and_b32_e32 v22, 7, v12
	s_wait_alu 0xf1ff
	v_cndmask_b32_e64 v20, 0, 1, s2
	v_cmp_ne_u32_e64 s0, 0, v3
	v_cmp_gt_i32_e64 s1, 1, v21
	v_lshrrev_b32_e32 v12, 2, v12
	v_cmp_gt_i32_e64 s2, 31, v17
	v_or_b32_e32 v19, v19, v20
	v_lshl_or_b32 v20, v21, 12, v5
	s_wait_alu 0xf1ff
	v_cndmask_b32_e64 v3, 0, 1, s0
	v_cmp_lt_i32_e64 s0, 5, v22
	v_cndmask_b32_e64 v10, 0x7c00, v10, s2
	v_cmp_eq_u32_e64 s2, 0x40f, v17
	v_cndmask_b32_e64 v13, v20, v19, s1
	v_cmp_eq_u32_e64 s1, 3, v22
	v_lshl_or_b32 v3, v3, 9, 0x7c00
	s_delay_alu instid0(VALU_DEP_3) | instskip(NEXT) | instid1(VALU_DEP_3)
	v_and_b32_e32 v19, 7, v13
	s_or_b32 s0, s1, s0
	s_delay_alu instid0(VALU_DEP_2)
	v_cndmask_b32_e64 v3, v10, v3, s2
	s_wait_alu 0xfffe
	v_add_co_ci_u32_e64 v12, s0, 0, v12, s0
	v_cmp_ne_u32_e64 s0, 0, v0
	v_cmp_eq_u32_e64 s1, 3, v19
	v_lshrrev_b32_e32 v10, 2, v13
	v_cmp_gt_i32_e64 s2, 31, v18
	s_wait_alu 0xf1ff
	v_cndmask_b32_e64 v0, 0, 1, s0
	v_cmp_lt_i32_e64 s0, 5, v19
	s_delay_alu instid0(VALU_DEP_3) | instskip(NEXT) | instid1(VALU_DEP_3)
	v_cndmask_b32_e64 v12, 0x7c00, v12, s2
	v_lshl_or_b32 v0, v0, 9, 0x7c00
	s_delay_alu instid0(VALU_DEP_3) | instskip(SKIP_4) | instid1(VALU_DEP_1)
	s_or_b32 s0, s1, s0
	s_wait_alu 0xfffe
	v_add_co_ci_u32_e64 v10, s0, 0, v10, s0
	v_cmp_ne_u32_e64 s0, 0, v5
	s_wait_alu 0xf1ff
	v_cndmask_b32_e64 v5, 0, 1, s0
	v_cmp_eq_u32_e64 s0, 0x40f, v18
	s_delay_alu instid0(VALU_DEP_2) | instskip(SKIP_1) | instid1(VALU_DEP_2)
	v_lshl_or_b32 v5, v5, 9, 0x7c00
	s_wait_alu 0xf1ff
	v_cndmask_b32_e64 v0, v12, v0, s0
	v_cmp_gt_i32_e64 s0, 31, v21
	v_and_or_b32 v12, 0x8000, v4, v3
	s_delay_alu instid0(VALU_DEP_3) | instskip(SKIP_1) | instid1(VALU_DEP_3)
	v_and_or_b32 v0, 0x8000, v1, v0
	s_wait_alu 0xf1ff
	v_cndmask_b32_e64 v10, 0x7c00, v10, s0
	v_cmp_eq_u32_e64 s0, 0x40f, v21
	s_delay_alu instid0(VALU_DEP_3) | instskip(SKIP_1) | instid1(VALU_DEP_2)
	v_and_b32_e32 v0, 0xffff, v0
	s_wait_alu 0xf1ff
	v_cndmask_b32_e64 v1, v10, v5, s0
	v_lshrrev_b32_e32 v5, 16, v6
	v_add_co_u32 v3, s0, v7, s14
	s_wait_alu 0xf1ff
	v_add_co_ci_u32_e64 v4, s0, s15, v8, s0
	s_delay_alu instid0(VALU_DEP_3) | instskip(NEXT) | instid1(VALU_DEP_3)
	v_and_or_b32 v1, 0x8000, v5, v1
	v_add_co_u32 v5, s0, v3, s14
	s_wait_alu 0xf1ff
	s_delay_alu instid0(VALU_DEP_3)
	v_add_co_ci_u32_e64 v6, s0, s15, v4, s0
	v_lshl_or_b32 v10, v12, 16, v11
	v_lshl_or_b32 v11, v1, 16, v0
	v_add_co_u32 v0, s0, v5, s14
	s_wait_alu 0xf1ff
	v_add_co_ci_u32_e64 v1, s0, s15, v6, s0
	global_store_b32 v[14:15], v2, off
	global_store_b32 v[7:8], v25, off
	;; [unrolled: 1-line block ×5, first 2 shown]
	s_and_b32 exec_lo, exec_lo, vcc_lo
	s_cbranch_execz .LBB0_15
; %bb.14:
	global_load_b32 v4, v[68:69], off offset:720
	v_add_nc_u32_e32 v2, 0x280, v111
	ds_load_2addr_b32 v[2:3], v2 offset0:20 offset1:236
	s_wait_dscnt 0x0
	v_lshrrev_b32_e32 v5, 16, v2
	s_wait_loadcnt 0x0
	v_lshrrev_b32_e32 v6, 16, v4
	s_delay_alu instid0(VALU_DEP_1) | instskip(SKIP_1) | instid1(VALU_DEP_2)
	v_mul_f16_e32 v7, v5, v6
	v_mul_f16_e32 v6, v2, v6
	v_fmac_f16_e32 v7, v2, v4
	s_delay_alu instid0(VALU_DEP_2) | instskip(NEXT) | instid1(VALU_DEP_2)
	v_fma_f16 v2, v4, v5, -v6
	v_cvt_f32_f16_e32 v4, v7
	s_delay_alu instid0(VALU_DEP_2) | instskip(NEXT) | instid1(VALU_DEP_2)
	v_cvt_f32_f16_e32 v2, v2
	v_cvt_f64_f32_e32 v[4:5], v4
	s_delay_alu instid0(VALU_DEP_2) | instskip(NEXT) | instid1(VALU_DEP_2)
	v_cvt_f64_f32_e32 v[6:7], v2
	v_mul_f64_e32 v[4:5], s[10:11], v[4:5]
	s_delay_alu instid0(VALU_DEP_2) | instskip(NEXT) | instid1(VALU_DEP_2)
	v_mul_f64_e32 v[6:7], s[10:11], v[6:7]
	v_and_or_b32 v2, 0x1ff, v5, v4
	s_delay_alu instid0(VALU_DEP_2)
	v_and_or_b32 v6, 0x1ff, v7, v6
	v_lshrrev_b32_e32 v4, 8, v5
	v_bfe_u32 v8, v5, 20, 11
	v_lshrrev_b32_e32 v9, 8, v7
	v_cmp_ne_u32_e32 vcc_lo, 0, v2
	v_bfe_u32 v10, v7, 20, 11
	v_lshrrev_b32_e32 v5, 16, v5
	v_sub_nc_u32_e32 v11, 0x3f1, v8
	v_add_nc_u32_e32 v8, 0xfffffc10, v8
	s_wait_alu 0xfffd
	v_cndmask_b32_e64 v2, 0, 1, vcc_lo
	v_cmp_ne_u32_e32 vcc_lo, 0, v6
	v_lshrrev_b32_e32 v7, 16, v7
	s_delay_alu instid0(VALU_DEP_3) | instskip(SKIP_4) | instid1(VALU_DEP_3)
	v_and_or_b32 v2, 0xffe, v4, v2
	s_wait_alu 0xfffd
	v_cndmask_b32_e64 v6, 0, 1, vcc_lo
	v_sub_nc_u32_e32 v4, 0x3f1, v10
	v_add_nc_u32_e32 v10, 0xfffffc10, v10
	v_and_or_b32 v6, 0xffe, v9, v6
	v_med3_i32 v9, v11, 0, 13
	v_or_b32_e32 v11, 0x1000, v2
	v_med3_i32 v4, v4, 0, 13
	s_delay_alu instid0(VALU_DEP_4) | instskip(NEXT) | instid1(VALU_DEP_3)
	v_or_b32_e32 v12, 0x1000, v6
	v_lshrrev_b32_e32 v13, v9, v11
	s_delay_alu instid0(VALU_DEP_2) | instskip(NEXT) | instid1(VALU_DEP_2)
	v_lshrrev_b32_e32 v14, v4, v12
	v_lshlrev_b32_e32 v9, v9, v13
	s_delay_alu instid0(VALU_DEP_2) | instskip(NEXT) | instid1(VALU_DEP_2)
	v_lshlrev_b32_e32 v4, v4, v14
	v_cmp_ne_u32_e32 vcc_lo, v9, v11
	v_lshl_or_b32 v11, v8, 12, v2
	s_wait_alu 0xfffd
	v_cndmask_b32_e64 v9, 0, 1, vcc_lo
	v_cmp_ne_u32_e32 vcc_lo, v4, v12
	v_lshl_or_b32 v12, v10, 12, v6
	s_delay_alu instid0(VALU_DEP_3) | instskip(SKIP_3) | instid1(VALU_DEP_2)
	v_or_b32_e32 v9, v13, v9
	s_wait_alu 0xfffd
	v_cndmask_b32_e64 v4, 0, 1, vcc_lo
	v_cmp_gt_i32_e32 vcc_lo, 1, v8
	v_or_b32_e32 v4, v14, v4
	s_wait_alu 0xfffd
	v_cndmask_b32_e32 v9, v11, v9, vcc_lo
	v_cmp_gt_i32_e32 vcc_lo, 1, v10
	s_wait_alu 0xfffd
	s_delay_alu instid0(VALU_DEP_2) | instskip(SKIP_2) | instid1(VALU_DEP_3)
	v_dual_cndmask_b32 v4, v12, v4 :: v_dual_and_b32 v11, 7, v9
	v_cmp_ne_u32_e32 vcc_lo, 0, v2
	v_lshrrev_b32_e32 v9, 2, v9
	v_cmp_eq_u32_e64 s0, 3, v11
	s_delay_alu instid0(VALU_DEP_4)
	v_and_b32_e32 v12, 7, v4
	s_wait_alu 0xfffd
	v_cndmask_b32_e64 v2, 0, 1, vcc_lo
	v_cmp_ne_u32_e32 vcc_lo, 0, v6
	v_lshrrev_b32_e32 v4, 2, v4
	v_cmp_lt_i32_e64 s1, 5, v12
	v_cmp_eq_u32_e64 s2, 3, v12
	s_wait_alu 0xfffd
	v_cndmask_b32_e64 v6, 0, 1, vcc_lo
	v_cmp_lt_i32_e32 vcc_lo, 5, v11
	v_lshl_or_b32 v2, v2, 9, 0x7c00
	s_delay_alu instid0(VALU_DEP_3)
	v_lshl_or_b32 v6, v6, 9, 0x7c00
	s_or_b32 vcc_lo, s0, vcc_lo
	s_wait_alu 0xfffe
	v_add_co_ci_u32_e32 v9, vcc_lo, 0, v9, vcc_lo
	s_or_b32 vcc_lo, s2, s1
	s_wait_alu 0xfffe
	v_add_co_ci_u32_e32 v4, vcc_lo, 0, v4, vcc_lo
	v_cmp_gt_i32_e32 vcc_lo, 31, v8
	s_wait_alu 0xfffd
	v_cndmask_b32_e32 v9, 0x7c00, v9, vcc_lo
	v_cmp_gt_i32_e32 vcc_lo, 31, v10
	s_wait_alu 0xfffd
	v_cndmask_b32_e32 v4, 0x7c00, v4, vcc_lo
	v_cmp_eq_u32_e32 vcc_lo, 0x40f, v8
	s_wait_alu 0xfffd
	v_cndmask_b32_e32 v2, v9, v2, vcc_lo
	v_cmp_eq_u32_e32 vcc_lo, 0x40f, v10
	s_delay_alu instid0(VALU_DEP_2)
	v_and_or_b32 v2, 0x8000, v5, v2
	s_wait_alu 0xfffd
	v_cndmask_b32_e32 v4, v4, v6, vcc_lo
	v_add_co_u32 v0, vcc_lo, v0, s16
	s_wait_alu 0xfffd
	v_add_co_ci_u32_e32 v1, vcc_lo, s17, v1, vcc_lo
	s_delay_alu instid0(VALU_DEP_3) | instskip(SKIP_1) | instid1(VALU_DEP_1)
	v_and_or_b32 v4, 0x8000, v7, v4
	v_and_b32_e32 v2, 0xffff, v2
	v_lshl_or_b32 v2, v4, 16, v2
	v_lshrrev_b32_e32 v4, 16, v3
	global_store_b32 v[0:1], v2, off
	global_load_b32 v2, v[68:69], off offset:1584
	s_wait_loadcnt 0x0
	v_lshrrev_b32_e32 v5, 16, v2
	s_delay_alu instid0(VALU_DEP_1) | instskip(SKIP_1) | instid1(VALU_DEP_2)
	v_mul_f16_e32 v6, v4, v5
	v_mul_f16_e32 v5, v3, v5
	v_fmac_f16_e32 v6, v3, v2
	s_delay_alu instid0(VALU_DEP_2) | instskip(NEXT) | instid1(VALU_DEP_2)
	v_fma_f16 v2, v2, v4, -v5
	v_cvt_f32_f16_e32 v3, v6
	s_delay_alu instid0(VALU_DEP_2) | instskip(NEXT) | instid1(VALU_DEP_2)
	v_cvt_f32_f16_e32 v4, v2
	v_cvt_f64_f32_e32 v[2:3], v3
	s_delay_alu instid0(VALU_DEP_2) | instskip(NEXT) | instid1(VALU_DEP_2)
	v_cvt_f64_f32_e32 v[4:5], v4
	v_mul_f64_e32 v[2:3], s[10:11], v[2:3]
	s_delay_alu instid0(VALU_DEP_2) | instskip(NEXT) | instid1(VALU_DEP_2)
	v_mul_f64_e32 v[4:5], s[10:11], v[4:5]
	v_and_or_b32 v2, 0x1ff, v3, v2
	s_delay_alu instid0(VALU_DEP_2)
	v_and_or_b32 v4, 0x1ff, v5, v4
	v_lshrrev_b32_e32 v6, 8, v3
	v_bfe_u32 v7, v3, 20, 11
	v_lshrrev_b32_e32 v8, 8, v5
	v_cmp_ne_u32_e32 vcc_lo, 0, v2
	v_bfe_u32 v9, v5, 20, 11
	v_lshrrev_b32_e32 v3, 16, v3
	v_sub_nc_u32_e32 v10, 0x3f1, v7
	v_add_nc_u32_e32 v7, 0xfffffc10, v7
	s_wait_alu 0xfffd
	v_cndmask_b32_e64 v2, 0, 1, vcc_lo
	v_cmp_ne_u32_e32 vcc_lo, 0, v4
	v_lshrrev_b32_e32 v5, 16, v5
	s_delay_alu instid0(VALU_DEP_3) | instskip(SKIP_4) | instid1(VALU_DEP_3)
	v_and_or_b32 v2, 0xffe, v6, v2
	s_wait_alu 0xfffd
	v_cndmask_b32_e64 v4, 0, 1, vcc_lo
	v_sub_nc_u32_e32 v6, 0x3f1, v9
	v_add_nc_u32_e32 v9, 0xfffffc10, v9
	v_and_or_b32 v4, 0xffe, v8, v4
	v_med3_i32 v8, v10, 0, 13
	v_or_b32_e32 v10, 0x1000, v2
	v_med3_i32 v6, v6, 0, 13
	s_delay_alu instid0(VALU_DEP_4) | instskip(NEXT) | instid1(VALU_DEP_3)
	v_or_b32_e32 v11, 0x1000, v4
	v_lshrrev_b32_e32 v12, v8, v10
	s_delay_alu instid0(VALU_DEP_2) | instskip(NEXT) | instid1(VALU_DEP_2)
	v_lshrrev_b32_e32 v13, v6, v11
	v_lshlrev_b32_e32 v8, v8, v12
	s_delay_alu instid0(VALU_DEP_2) | instskip(NEXT) | instid1(VALU_DEP_2)
	v_lshlrev_b32_e32 v6, v6, v13
	v_cmp_ne_u32_e32 vcc_lo, v8, v10
	v_lshl_or_b32 v10, v7, 12, v2
	s_wait_alu 0xfffd
	v_cndmask_b32_e64 v8, 0, 1, vcc_lo
	v_cmp_ne_u32_e32 vcc_lo, v6, v11
	v_lshl_or_b32 v11, v9, 12, v4
	s_delay_alu instid0(VALU_DEP_3) | instskip(SKIP_3) | instid1(VALU_DEP_2)
	v_or_b32_e32 v8, v12, v8
	s_wait_alu 0xfffd
	v_cndmask_b32_e64 v6, 0, 1, vcc_lo
	v_cmp_gt_i32_e32 vcc_lo, 1, v7
	v_or_b32_e32 v6, v13, v6
	s_wait_alu 0xfffd
	v_cndmask_b32_e32 v8, v10, v8, vcc_lo
	v_cmp_gt_i32_e32 vcc_lo, 1, v9
	s_wait_alu 0xfffd
	v_cndmask_b32_e32 v6, v11, v6, vcc_lo
	v_cmp_ne_u32_e32 vcc_lo, 0, v2
	s_delay_alu instid0(VALU_DEP_2)
	v_and_b32_e32 v11, 7, v6
	s_wait_alu 0xfffd
	v_cndmask_b32_e64 v2, 0, 1, vcc_lo
	v_and_b32_e32 v10, 7, v8
	v_cmp_ne_u32_e32 vcc_lo, 0, v4
	v_lshrrev_b32_e32 v8, 2, v8
	v_cmp_lt_i32_e64 s1, 5, v11
	v_cmp_eq_u32_e64 s2, 3, v11
	v_cmp_eq_u32_e64 s0, 3, v10
	s_wait_alu 0xfffd
	v_cndmask_b32_e64 v4, 0, 1, vcc_lo
	v_cmp_lt_i32_e32 vcc_lo, 5, v10
	v_lshrrev_b32_e32 v6, 2, v6
	v_lshl_or_b32 v2, v2, 9, 0x7c00
	s_delay_alu instid0(VALU_DEP_4)
	v_lshl_or_b32 v4, v4, 9, 0x7c00
	s_or_b32 vcc_lo, s0, vcc_lo
	s_wait_alu 0xfffe
	v_add_co_ci_u32_e32 v8, vcc_lo, 0, v8, vcc_lo
	s_or_b32 vcc_lo, s2, s1
	s_wait_alu 0xfffe
	v_add_co_ci_u32_e32 v6, vcc_lo, 0, v6, vcc_lo
	v_cmp_gt_i32_e32 vcc_lo, 31, v7
	s_wait_alu 0xfffd
	v_cndmask_b32_e32 v8, 0x7c00, v8, vcc_lo
	v_cmp_gt_i32_e32 vcc_lo, 31, v9
	s_wait_alu 0xfffd
	v_cndmask_b32_e32 v6, 0x7c00, v6, vcc_lo
	v_cmp_eq_u32_e32 vcc_lo, 0x40f, v7
	s_wait_alu 0xfffd
	v_cndmask_b32_e32 v2, v8, v2, vcc_lo
	v_cmp_eq_u32_e32 vcc_lo, 0x40f, v9
	s_delay_alu instid0(VALU_DEP_2)
	v_and_or_b32 v2, 0x8000, v3, v2
	s_wait_alu 0xfffd
	v_cndmask_b32_e32 v4, v6, v4, vcc_lo
	v_add_co_u32 v0, vcc_lo, v0, s14
	s_wait_alu 0xfffd
	v_add_co_ci_u32_e32 v1, vcc_lo, s15, v1, vcc_lo
	s_delay_alu instid0(VALU_DEP_3) | instskip(SKIP_1) | instid1(VALU_DEP_1)
	v_and_or_b32 v3, 0x8000, v5, v4
	v_and_b32_e32 v2, 0xffff, v2
	v_lshl_or_b32 v2, v3, 16, v2
	global_store_b32 v[0:1], v2, off
	global_load_b32 v4, v[68:69], off offset:2448
	v_add_nc_u32_e32 v2, 0x900, v111
	ds_load_2addr_b32 v[2:3], v2 offset0:36 offset1:252
	s_wait_dscnt 0x0
	v_lshrrev_b32_e32 v5, 16, v2
	s_wait_loadcnt 0x0
	v_lshrrev_b32_e32 v6, 16, v4
	s_delay_alu instid0(VALU_DEP_1) | instskip(SKIP_1) | instid1(VALU_DEP_2)
	v_mul_f16_e32 v7, v5, v6
	v_mul_f16_e32 v6, v2, v6
	v_fmac_f16_e32 v7, v2, v4
	s_delay_alu instid0(VALU_DEP_2) | instskip(NEXT) | instid1(VALU_DEP_2)
	v_fma_f16 v2, v4, v5, -v6
	v_cvt_f32_f16_e32 v4, v7
	s_delay_alu instid0(VALU_DEP_2) | instskip(NEXT) | instid1(VALU_DEP_2)
	v_cvt_f32_f16_e32 v2, v2
	v_cvt_f64_f32_e32 v[4:5], v4
	s_delay_alu instid0(VALU_DEP_2) | instskip(NEXT) | instid1(VALU_DEP_2)
	v_cvt_f64_f32_e32 v[6:7], v2
	v_mul_f64_e32 v[4:5], s[10:11], v[4:5]
	s_delay_alu instid0(VALU_DEP_2) | instskip(NEXT) | instid1(VALU_DEP_2)
	v_mul_f64_e32 v[6:7], s[10:11], v[6:7]
	v_and_or_b32 v2, 0x1ff, v5, v4
	s_delay_alu instid0(VALU_DEP_2)
	v_and_or_b32 v6, 0x1ff, v7, v6
	v_lshrrev_b32_e32 v4, 8, v5
	v_bfe_u32 v8, v5, 20, 11
	v_lshrrev_b32_e32 v9, 8, v7
	v_cmp_ne_u32_e32 vcc_lo, 0, v2
	v_bfe_u32 v10, v7, 20, 11
	v_lshrrev_b32_e32 v5, 16, v5
	v_sub_nc_u32_e32 v11, 0x3f1, v8
	v_add_nc_u32_e32 v8, 0xfffffc10, v8
	s_wait_alu 0xfffd
	v_cndmask_b32_e64 v2, 0, 1, vcc_lo
	v_cmp_ne_u32_e32 vcc_lo, 0, v6
	v_lshrrev_b32_e32 v7, 16, v7
	s_delay_alu instid0(VALU_DEP_3) | instskip(SKIP_4) | instid1(VALU_DEP_3)
	v_and_or_b32 v2, 0xffe, v4, v2
	s_wait_alu 0xfffd
	v_cndmask_b32_e64 v6, 0, 1, vcc_lo
	v_sub_nc_u32_e32 v4, 0x3f1, v10
	v_add_nc_u32_e32 v10, 0xfffffc10, v10
	v_and_or_b32 v6, 0xffe, v9, v6
	v_med3_i32 v9, v11, 0, 13
	v_or_b32_e32 v11, 0x1000, v2
	v_med3_i32 v4, v4, 0, 13
	s_delay_alu instid0(VALU_DEP_4) | instskip(NEXT) | instid1(VALU_DEP_3)
	v_or_b32_e32 v12, 0x1000, v6
	v_lshrrev_b32_e32 v13, v9, v11
	s_delay_alu instid0(VALU_DEP_2) | instskip(NEXT) | instid1(VALU_DEP_2)
	v_lshrrev_b32_e32 v14, v4, v12
	v_lshlrev_b32_e32 v9, v9, v13
	s_delay_alu instid0(VALU_DEP_2) | instskip(NEXT) | instid1(VALU_DEP_2)
	v_lshlrev_b32_e32 v4, v4, v14
	v_cmp_ne_u32_e32 vcc_lo, v9, v11
	v_lshl_or_b32 v11, v8, 12, v2
	s_wait_alu 0xfffd
	v_cndmask_b32_e64 v9, 0, 1, vcc_lo
	v_cmp_ne_u32_e32 vcc_lo, v4, v12
	v_lshl_or_b32 v12, v10, 12, v6
	s_delay_alu instid0(VALU_DEP_3) | instskip(SKIP_3) | instid1(VALU_DEP_2)
	v_or_b32_e32 v9, v13, v9
	s_wait_alu 0xfffd
	v_cndmask_b32_e64 v4, 0, 1, vcc_lo
	v_cmp_gt_i32_e32 vcc_lo, 1, v8
	v_or_b32_e32 v4, v14, v4
	s_wait_alu 0xfffd
	v_cndmask_b32_e32 v9, v11, v9, vcc_lo
	v_cmp_gt_i32_e32 vcc_lo, 1, v10
	s_wait_alu 0xfffd
	s_delay_alu instid0(VALU_DEP_2) | instskip(SKIP_2) | instid1(VALU_DEP_3)
	v_dual_cndmask_b32 v4, v12, v4 :: v_dual_and_b32 v11, 7, v9
	v_cmp_ne_u32_e32 vcc_lo, 0, v2
	v_lshrrev_b32_e32 v9, 2, v9
	v_cmp_eq_u32_e64 s0, 3, v11
	s_delay_alu instid0(VALU_DEP_4)
	v_and_b32_e32 v12, 7, v4
	s_wait_alu 0xfffd
	v_cndmask_b32_e64 v2, 0, 1, vcc_lo
	v_cmp_ne_u32_e32 vcc_lo, 0, v6
	v_lshrrev_b32_e32 v4, 2, v4
	v_cmp_lt_i32_e64 s1, 5, v12
	v_cmp_eq_u32_e64 s2, 3, v12
	s_wait_alu 0xfffd
	v_cndmask_b32_e64 v6, 0, 1, vcc_lo
	v_cmp_lt_i32_e32 vcc_lo, 5, v11
	v_lshl_or_b32 v2, v2, 9, 0x7c00
	s_delay_alu instid0(VALU_DEP_3)
	v_lshl_or_b32 v6, v6, 9, 0x7c00
	s_or_b32 vcc_lo, s0, vcc_lo
	s_wait_alu 0xfffe
	v_add_co_ci_u32_e32 v9, vcc_lo, 0, v9, vcc_lo
	s_or_b32 vcc_lo, s2, s1
	s_wait_alu 0xfffe
	v_add_co_ci_u32_e32 v4, vcc_lo, 0, v4, vcc_lo
	v_cmp_gt_i32_e32 vcc_lo, 31, v8
	s_wait_alu 0xfffd
	v_cndmask_b32_e32 v9, 0x7c00, v9, vcc_lo
	v_cmp_gt_i32_e32 vcc_lo, 31, v10
	s_wait_alu 0xfffd
	v_cndmask_b32_e32 v4, 0x7c00, v4, vcc_lo
	v_cmp_eq_u32_e32 vcc_lo, 0x40f, v8
	s_wait_alu 0xfffd
	v_cndmask_b32_e32 v2, v9, v2, vcc_lo
	v_cmp_eq_u32_e32 vcc_lo, 0x40f, v10
	s_delay_alu instid0(VALU_DEP_2)
	v_and_or_b32 v2, 0x8000, v5, v2
	s_wait_alu 0xfffd
	v_cndmask_b32_e32 v4, v4, v6, vcc_lo
	v_add_co_u32 v0, vcc_lo, v0, s14
	s_wait_alu 0xfffd
	v_add_co_ci_u32_e32 v1, vcc_lo, s15, v1, vcc_lo
	s_delay_alu instid0(VALU_DEP_3) | instskip(SKIP_1) | instid1(VALU_DEP_1)
	v_and_or_b32 v4, 0x8000, v7, v4
	v_and_b32_e32 v2, 0xffff, v2
	v_lshl_or_b32 v2, v4, 16, v2
	v_lshrrev_b32_e32 v4, 16, v3
	global_store_b32 v[0:1], v2, off
	global_load_b32 v2, v[68:69], off offset:3312
	s_wait_loadcnt 0x0
	v_lshrrev_b32_e32 v5, 16, v2
	s_delay_alu instid0(VALU_DEP_1) | instskip(SKIP_1) | instid1(VALU_DEP_2)
	v_mul_f16_e32 v6, v4, v5
	v_mul_f16_e32 v5, v3, v5
	v_fmac_f16_e32 v6, v3, v2
	s_delay_alu instid0(VALU_DEP_2) | instskip(NEXT) | instid1(VALU_DEP_2)
	v_fma_f16 v2, v2, v4, -v5
	v_cvt_f32_f16_e32 v3, v6
	s_delay_alu instid0(VALU_DEP_2) | instskip(NEXT) | instid1(VALU_DEP_2)
	v_cvt_f32_f16_e32 v4, v2
	v_cvt_f64_f32_e32 v[2:3], v3
	s_delay_alu instid0(VALU_DEP_2) | instskip(NEXT) | instid1(VALU_DEP_2)
	v_cvt_f64_f32_e32 v[4:5], v4
	v_mul_f64_e32 v[2:3], s[10:11], v[2:3]
	s_delay_alu instid0(VALU_DEP_2) | instskip(NEXT) | instid1(VALU_DEP_2)
	v_mul_f64_e32 v[4:5], s[10:11], v[4:5]
	v_and_or_b32 v2, 0x1ff, v3, v2
	s_delay_alu instid0(VALU_DEP_2)
	v_and_or_b32 v4, 0x1ff, v5, v4
	v_lshrrev_b32_e32 v6, 8, v3
	v_bfe_u32 v7, v3, 20, 11
	v_lshrrev_b32_e32 v8, 8, v5
	v_cmp_ne_u32_e32 vcc_lo, 0, v2
	v_bfe_u32 v9, v5, 20, 11
	v_lshrrev_b32_e32 v3, 16, v3
	v_sub_nc_u32_e32 v10, 0x3f1, v7
	v_add_nc_u32_e32 v7, 0xfffffc10, v7
	s_wait_alu 0xfffd
	v_cndmask_b32_e64 v2, 0, 1, vcc_lo
	v_cmp_ne_u32_e32 vcc_lo, 0, v4
	v_lshrrev_b32_e32 v5, 16, v5
	s_delay_alu instid0(VALU_DEP_3) | instskip(SKIP_4) | instid1(VALU_DEP_3)
	v_and_or_b32 v2, 0xffe, v6, v2
	s_wait_alu 0xfffd
	v_cndmask_b32_e64 v4, 0, 1, vcc_lo
	v_sub_nc_u32_e32 v6, 0x3f1, v9
	v_add_nc_u32_e32 v9, 0xfffffc10, v9
	v_and_or_b32 v4, 0xffe, v8, v4
	v_med3_i32 v8, v10, 0, 13
	v_or_b32_e32 v10, 0x1000, v2
	v_med3_i32 v6, v6, 0, 13
	s_delay_alu instid0(VALU_DEP_4) | instskip(NEXT) | instid1(VALU_DEP_3)
	v_or_b32_e32 v11, 0x1000, v4
	v_lshrrev_b32_e32 v12, v8, v10
	s_delay_alu instid0(VALU_DEP_2) | instskip(NEXT) | instid1(VALU_DEP_2)
	v_lshrrev_b32_e32 v13, v6, v11
	v_lshlrev_b32_e32 v8, v8, v12
	s_delay_alu instid0(VALU_DEP_2) | instskip(NEXT) | instid1(VALU_DEP_2)
	v_lshlrev_b32_e32 v6, v6, v13
	v_cmp_ne_u32_e32 vcc_lo, v8, v10
	v_lshl_or_b32 v10, v7, 12, v2
	s_wait_alu 0xfffd
	v_cndmask_b32_e64 v8, 0, 1, vcc_lo
	v_cmp_ne_u32_e32 vcc_lo, v6, v11
	v_lshl_or_b32 v11, v9, 12, v4
	s_delay_alu instid0(VALU_DEP_3) | instskip(SKIP_3) | instid1(VALU_DEP_2)
	v_or_b32_e32 v8, v12, v8
	s_wait_alu 0xfffd
	v_cndmask_b32_e64 v6, 0, 1, vcc_lo
	v_cmp_gt_i32_e32 vcc_lo, 1, v7
	v_or_b32_e32 v6, v13, v6
	s_wait_alu 0xfffd
	v_cndmask_b32_e32 v8, v10, v8, vcc_lo
	v_cmp_gt_i32_e32 vcc_lo, 1, v9
	s_delay_alu instid0(VALU_DEP_2)
	v_and_b32_e32 v10, 7, v8
	s_wait_alu 0xfffd
	v_cndmask_b32_e32 v6, v11, v6, vcc_lo
	v_cmp_ne_u32_e32 vcc_lo, 0, v2
	v_lshrrev_b32_e32 v8, 2, v8
	v_cmp_eq_u32_e64 s0, 3, v10
	s_delay_alu instid0(VALU_DEP_4)
	v_and_b32_e32 v11, 7, v6
	s_wait_alu 0xfffd
	v_cndmask_b32_e64 v2, 0, 1, vcc_lo
	v_cmp_ne_u32_e32 vcc_lo, 0, v4
	v_lshrrev_b32_e32 v6, 2, v6
	v_cmp_lt_i32_e64 s1, 5, v11
	v_cmp_eq_u32_e64 s2, 3, v11
	s_wait_alu 0xfffd
	v_cndmask_b32_e64 v4, 0, 1, vcc_lo
	v_cmp_lt_i32_e32 vcc_lo, 5, v10
	v_lshl_or_b32 v2, v2, 9, 0x7c00
	s_delay_alu instid0(VALU_DEP_3)
	v_lshl_or_b32 v4, v4, 9, 0x7c00
	s_or_b32 vcc_lo, s0, vcc_lo
	s_wait_alu 0xfffe
	v_add_co_ci_u32_e32 v8, vcc_lo, 0, v8, vcc_lo
	s_or_b32 vcc_lo, s2, s1
	s_wait_alu 0xfffe
	v_add_co_ci_u32_e32 v6, vcc_lo, 0, v6, vcc_lo
	v_cmp_gt_i32_e32 vcc_lo, 31, v7
	s_wait_alu 0xfffd
	v_cndmask_b32_e32 v8, 0x7c00, v8, vcc_lo
	v_cmp_gt_i32_e32 vcc_lo, 31, v9
	s_wait_alu 0xfffd
	v_cndmask_b32_e32 v6, 0x7c00, v6, vcc_lo
	v_cmp_eq_u32_e32 vcc_lo, 0x40f, v7
	s_wait_alu 0xfffd
	v_cndmask_b32_e32 v2, v8, v2, vcc_lo
	v_cmp_eq_u32_e32 vcc_lo, 0x40f, v9
	s_delay_alu instid0(VALU_DEP_2)
	v_and_or_b32 v2, 0x8000, v3, v2
	s_wait_alu 0xfffd
	v_cndmask_b32_e32 v4, v6, v4, vcc_lo
	v_add_co_u32 v0, vcc_lo, v0, s14
	s_wait_alu 0xfffd
	v_add_co_ci_u32_e32 v1, vcc_lo, s15, v1, vcc_lo
	s_delay_alu instid0(VALU_DEP_3) | instskip(SKIP_1) | instid1(VALU_DEP_1)
	v_and_or_b32 v3, 0x8000, v5, v4
	v_and_b32_e32 v2, 0xffff, v2
	v_lshl_or_b32 v2, v3, 16, v2
	global_store_b32 v[0:1], v2, off
	global_load_b32 v4, v[68:69], off offset:4176
	ds_load_2addr_b32 v[2:3], v71 offset0:20 offset1:236
	s_wait_dscnt 0x0
	v_lshrrev_b32_e32 v5, 16, v2
	s_wait_loadcnt 0x0
	v_lshrrev_b32_e32 v6, 16, v4
	s_delay_alu instid0(VALU_DEP_1) | instskip(SKIP_1) | instid1(VALU_DEP_2)
	v_mul_f16_e32 v7, v5, v6
	v_mul_f16_e32 v6, v2, v6
	v_fmac_f16_e32 v7, v2, v4
	s_delay_alu instid0(VALU_DEP_2) | instskip(NEXT) | instid1(VALU_DEP_2)
	v_fma_f16 v2, v4, v5, -v6
	v_cvt_f32_f16_e32 v4, v7
	s_delay_alu instid0(VALU_DEP_2) | instskip(NEXT) | instid1(VALU_DEP_2)
	v_cvt_f32_f16_e32 v2, v2
	v_cvt_f64_f32_e32 v[4:5], v4
	s_delay_alu instid0(VALU_DEP_2) | instskip(NEXT) | instid1(VALU_DEP_2)
	v_cvt_f64_f32_e32 v[6:7], v2
	v_mul_f64_e32 v[4:5], s[10:11], v[4:5]
	s_delay_alu instid0(VALU_DEP_2) | instskip(NEXT) | instid1(VALU_DEP_2)
	v_mul_f64_e32 v[6:7], s[10:11], v[6:7]
	v_and_or_b32 v2, 0x1ff, v5, v4
	s_delay_alu instid0(VALU_DEP_2)
	v_and_or_b32 v6, 0x1ff, v7, v6
	v_lshrrev_b32_e32 v4, 8, v5
	v_bfe_u32 v8, v5, 20, 11
	v_lshrrev_b32_e32 v9, 8, v7
	v_cmp_ne_u32_e32 vcc_lo, 0, v2
	v_bfe_u32 v10, v7, 20, 11
	v_lshrrev_b32_e32 v5, 16, v5
	v_sub_nc_u32_e32 v11, 0x3f1, v8
	v_add_nc_u32_e32 v8, 0xfffffc10, v8
	s_wait_alu 0xfffd
	v_cndmask_b32_e64 v2, 0, 1, vcc_lo
	v_cmp_ne_u32_e32 vcc_lo, 0, v6
	v_lshrrev_b32_e32 v7, 16, v7
	s_delay_alu instid0(VALU_DEP_3) | instskip(SKIP_4) | instid1(VALU_DEP_3)
	v_and_or_b32 v2, 0xffe, v4, v2
	s_wait_alu 0xfffd
	v_cndmask_b32_e64 v6, 0, 1, vcc_lo
	v_sub_nc_u32_e32 v4, 0x3f1, v10
	v_add_nc_u32_e32 v10, 0xfffffc10, v10
	v_and_or_b32 v6, 0xffe, v9, v6
	v_med3_i32 v9, v11, 0, 13
	v_or_b32_e32 v11, 0x1000, v2
	v_med3_i32 v4, v4, 0, 13
	s_delay_alu instid0(VALU_DEP_4) | instskip(NEXT) | instid1(VALU_DEP_3)
	v_or_b32_e32 v12, 0x1000, v6
	v_lshrrev_b32_e32 v13, v9, v11
	s_delay_alu instid0(VALU_DEP_2) | instskip(NEXT) | instid1(VALU_DEP_2)
	v_lshrrev_b32_e32 v14, v4, v12
	v_lshlrev_b32_e32 v9, v9, v13
	s_delay_alu instid0(VALU_DEP_2) | instskip(NEXT) | instid1(VALU_DEP_2)
	v_lshlrev_b32_e32 v4, v4, v14
	v_cmp_ne_u32_e32 vcc_lo, v9, v11
	v_lshl_or_b32 v11, v8, 12, v2
	s_wait_alu 0xfffd
	v_cndmask_b32_e64 v9, 0, 1, vcc_lo
	v_cmp_ne_u32_e32 vcc_lo, v4, v12
	v_lshl_or_b32 v12, v10, 12, v6
	s_delay_alu instid0(VALU_DEP_3) | instskip(SKIP_3) | instid1(VALU_DEP_2)
	v_or_b32_e32 v9, v13, v9
	s_wait_alu 0xfffd
	v_cndmask_b32_e64 v4, 0, 1, vcc_lo
	v_cmp_gt_i32_e32 vcc_lo, 1, v8
	v_or_b32_e32 v4, v14, v4
	s_wait_alu 0xfffd
	v_cndmask_b32_e32 v9, v11, v9, vcc_lo
	v_cmp_gt_i32_e32 vcc_lo, 1, v10
	s_wait_alu 0xfffd
	s_delay_alu instid0(VALU_DEP_2) | instskip(SKIP_2) | instid1(VALU_DEP_3)
	v_dual_cndmask_b32 v4, v12, v4 :: v_dual_and_b32 v11, 7, v9
	v_cmp_ne_u32_e32 vcc_lo, 0, v2
	v_lshrrev_b32_e32 v9, 2, v9
	v_cmp_eq_u32_e64 s0, 3, v11
	s_delay_alu instid0(VALU_DEP_4)
	v_and_b32_e32 v12, 7, v4
	s_wait_alu 0xfffd
	v_cndmask_b32_e64 v2, 0, 1, vcc_lo
	v_cmp_ne_u32_e32 vcc_lo, 0, v6
	v_lshrrev_b32_e32 v4, 2, v4
	v_cmp_lt_i32_e64 s1, 5, v12
	v_cmp_eq_u32_e64 s2, 3, v12
	s_wait_alu 0xfffd
	v_cndmask_b32_e64 v6, 0, 1, vcc_lo
	v_cmp_lt_i32_e32 vcc_lo, 5, v11
	v_lshl_or_b32 v2, v2, 9, 0x7c00
	s_delay_alu instid0(VALU_DEP_3)
	v_lshl_or_b32 v6, v6, 9, 0x7c00
	s_or_b32 vcc_lo, s0, vcc_lo
	s_wait_alu 0xfffe
	v_add_co_ci_u32_e32 v9, vcc_lo, 0, v9, vcc_lo
	s_or_b32 vcc_lo, s2, s1
	s_wait_alu 0xfffe
	v_add_co_ci_u32_e32 v4, vcc_lo, 0, v4, vcc_lo
	v_cmp_gt_i32_e32 vcc_lo, 31, v8
	s_wait_alu 0xfffd
	v_cndmask_b32_e32 v9, 0x7c00, v9, vcc_lo
	v_cmp_gt_i32_e32 vcc_lo, 31, v10
	s_wait_alu 0xfffd
	v_cndmask_b32_e32 v4, 0x7c00, v4, vcc_lo
	v_cmp_eq_u32_e32 vcc_lo, 0x40f, v8
	s_wait_alu 0xfffd
	v_cndmask_b32_e32 v2, v9, v2, vcc_lo
	v_cmp_eq_u32_e32 vcc_lo, 0x40f, v10
	s_delay_alu instid0(VALU_DEP_2)
	v_and_or_b32 v2, 0x8000, v5, v2
	s_wait_alu 0xfffd
	v_cndmask_b32_e32 v4, v4, v6, vcc_lo
	v_add_co_u32 v0, vcc_lo, v0, s14
	s_wait_alu 0xfffd
	v_add_co_ci_u32_e32 v1, vcc_lo, s15, v1, vcc_lo
	s_delay_alu instid0(VALU_DEP_3) | instskip(SKIP_1) | instid1(VALU_DEP_1)
	v_and_or_b32 v4, 0x8000, v7, v4
	v_and_b32_e32 v2, 0xffff, v2
	v_lshl_or_b32 v2, v4, 16, v2
	v_lshrrev_b32_e32 v4, 16, v3
	global_store_b32 v[0:1], v2, off
	global_load_b32 v2, v[68:69], off offset:5040
	s_wait_loadcnt 0x0
	v_lshrrev_b32_e32 v5, 16, v2
	s_delay_alu instid0(VALU_DEP_1) | instskip(SKIP_1) | instid1(VALU_DEP_2)
	v_mul_f16_e32 v6, v4, v5
	v_mul_f16_e32 v5, v3, v5
	v_fmac_f16_e32 v6, v3, v2
	s_delay_alu instid0(VALU_DEP_2) | instskip(NEXT) | instid1(VALU_DEP_2)
	v_fma_f16 v2, v2, v4, -v5
	v_cvt_f32_f16_e32 v3, v6
	s_delay_alu instid0(VALU_DEP_2) | instskip(NEXT) | instid1(VALU_DEP_2)
	v_cvt_f32_f16_e32 v4, v2
	v_cvt_f64_f32_e32 v[2:3], v3
	s_delay_alu instid0(VALU_DEP_2) | instskip(NEXT) | instid1(VALU_DEP_2)
	v_cvt_f64_f32_e32 v[4:5], v4
	v_mul_f64_e32 v[2:3], s[10:11], v[2:3]
	s_delay_alu instid0(VALU_DEP_2) | instskip(NEXT) | instid1(VALU_DEP_2)
	v_mul_f64_e32 v[4:5], s[10:11], v[4:5]
	v_and_or_b32 v2, 0x1ff, v3, v2
	s_delay_alu instid0(VALU_DEP_2)
	v_and_or_b32 v4, 0x1ff, v5, v4
	v_lshrrev_b32_e32 v6, 8, v3
	v_bfe_u32 v7, v3, 20, 11
	v_lshrrev_b32_e32 v8, 8, v5
	v_cmp_ne_u32_e32 vcc_lo, 0, v2
	v_bfe_u32 v9, v5, 20, 11
	v_lshrrev_b32_e32 v3, 16, v3
	v_sub_nc_u32_e32 v10, 0x3f1, v7
	v_add_nc_u32_e32 v7, 0xfffffc10, v7
	s_wait_alu 0xfffd
	v_cndmask_b32_e64 v2, 0, 1, vcc_lo
	v_cmp_ne_u32_e32 vcc_lo, 0, v4
	v_lshrrev_b32_e32 v5, 16, v5
	s_delay_alu instid0(VALU_DEP_3) | instskip(SKIP_4) | instid1(VALU_DEP_3)
	v_and_or_b32 v2, 0xffe, v6, v2
	s_wait_alu 0xfffd
	v_cndmask_b32_e64 v4, 0, 1, vcc_lo
	v_sub_nc_u32_e32 v6, 0x3f1, v9
	v_add_nc_u32_e32 v9, 0xfffffc10, v9
	v_and_or_b32 v4, 0xffe, v8, v4
	v_med3_i32 v8, v10, 0, 13
	v_or_b32_e32 v10, 0x1000, v2
	v_med3_i32 v6, v6, 0, 13
	s_delay_alu instid0(VALU_DEP_4) | instskip(NEXT) | instid1(VALU_DEP_3)
	v_or_b32_e32 v11, 0x1000, v4
	v_lshrrev_b32_e32 v12, v8, v10
	s_delay_alu instid0(VALU_DEP_2) | instskip(NEXT) | instid1(VALU_DEP_2)
	v_lshrrev_b32_e32 v13, v6, v11
	v_lshlrev_b32_e32 v8, v8, v12
	s_delay_alu instid0(VALU_DEP_2) | instskip(NEXT) | instid1(VALU_DEP_2)
	v_lshlrev_b32_e32 v6, v6, v13
	v_cmp_ne_u32_e32 vcc_lo, v8, v10
	v_lshl_or_b32 v10, v7, 12, v2
	s_wait_alu 0xfffd
	v_cndmask_b32_e64 v8, 0, 1, vcc_lo
	v_cmp_ne_u32_e32 vcc_lo, v6, v11
	v_lshl_or_b32 v11, v9, 12, v4
	s_delay_alu instid0(VALU_DEP_3) | instskip(SKIP_3) | instid1(VALU_DEP_2)
	v_or_b32_e32 v8, v12, v8
	s_wait_alu 0xfffd
	v_cndmask_b32_e64 v6, 0, 1, vcc_lo
	v_cmp_gt_i32_e32 vcc_lo, 1, v7
	v_or_b32_e32 v6, v13, v6
	s_wait_alu 0xfffd
	v_cndmask_b32_e32 v8, v10, v8, vcc_lo
	v_cmp_gt_i32_e32 vcc_lo, 1, v9
	s_delay_alu instid0(VALU_DEP_2)
	v_and_b32_e32 v10, 7, v8
	s_wait_alu 0xfffd
	v_cndmask_b32_e32 v6, v11, v6, vcc_lo
	v_cmp_ne_u32_e32 vcc_lo, 0, v2
	v_lshrrev_b32_e32 v8, 2, v8
	v_cmp_eq_u32_e64 s0, 3, v10
	s_delay_alu instid0(VALU_DEP_4)
	v_and_b32_e32 v11, 7, v6
	s_wait_alu 0xfffd
	v_cndmask_b32_e64 v2, 0, 1, vcc_lo
	v_cmp_ne_u32_e32 vcc_lo, 0, v4
	v_lshrrev_b32_e32 v6, 2, v6
	v_cmp_lt_i32_e64 s1, 5, v11
	v_cmp_eq_u32_e64 s2, 3, v11
	s_wait_alu 0xfffd
	v_cndmask_b32_e64 v4, 0, 1, vcc_lo
	v_cmp_lt_i32_e32 vcc_lo, 5, v10
	v_lshl_or_b32 v2, v2, 9, 0x7c00
	s_delay_alu instid0(VALU_DEP_3)
	v_lshl_or_b32 v4, v4, 9, 0x7c00
	s_or_b32 vcc_lo, s0, vcc_lo
	s_wait_alu 0xfffe
	v_add_co_ci_u32_e32 v8, vcc_lo, 0, v8, vcc_lo
	s_or_b32 vcc_lo, s2, s1
	s_wait_alu 0xfffe
	v_add_co_ci_u32_e32 v6, vcc_lo, 0, v6, vcc_lo
	v_cmp_gt_i32_e32 vcc_lo, 31, v7
	s_wait_alu 0xfffd
	v_cndmask_b32_e32 v8, 0x7c00, v8, vcc_lo
	v_cmp_gt_i32_e32 vcc_lo, 31, v9
	s_wait_alu 0xfffd
	v_cndmask_b32_e32 v6, 0x7c00, v6, vcc_lo
	v_cmp_eq_u32_e32 vcc_lo, 0x40f, v7
	s_wait_alu 0xfffd
	v_cndmask_b32_e32 v2, v8, v2, vcc_lo
	v_cmp_eq_u32_e32 vcc_lo, 0x40f, v9
	s_delay_alu instid0(VALU_DEP_2)
	v_and_or_b32 v2, 0x8000, v3, v2
	s_wait_alu 0xfffd
	v_cndmask_b32_e32 v4, v6, v4, vcc_lo
	v_add_co_u32 v0, vcc_lo, v0, s14
	s_wait_alu 0xfffd
	v_add_co_ci_u32_e32 v1, vcc_lo, s15, v1, vcc_lo
	s_delay_alu instid0(VALU_DEP_3) | instskip(SKIP_1) | instid1(VALU_DEP_1)
	v_and_or_b32 v3, 0x8000, v5, v4
	v_and_b32_e32 v2, 0xffff, v2
	v_lshl_or_b32 v2, v3, 16, v2
	global_store_b32 v[0:1], v2, off
	global_load_b32 v4, v[68:69], off offset:5904
	v_add_nc_u32_e32 v2, 0x1700, v111
	ds_load_2addr_b32 v[2:3], v2 offset0:4 offset1:220
	s_wait_dscnt 0x0
	v_lshrrev_b32_e32 v5, 16, v2
	s_wait_loadcnt 0x0
	v_lshrrev_b32_e32 v6, 16, v4
	s_delay_alu instid0(VALU_DEP_1) | instskip(SKIP_1) | instid1(VALU_DEP_2)
	v_mul_f16_e32 v7, v5, v6
	v_mul_f16_e32 v6, v2, v6
	v_fmac_f16_e32 v7, v2, v4
	s_delay_alu instid0(VALU_DEP_2) | instskip(NEXT) | instid1(VALU_DEP_2)
	v_fma_f16 v2, v4, v5, -v6
	v_cvt_f32_f16_e32 v4, v7
	s_delay_alu instid0(VALU_DEP_2) | instskip(NEXT) | instid1(VALU_DEP_2)
	v_cvt_f32_f16_e32 v2, v2
	v_cvt_f64_f32_e32 v[4:5], v4
	s_delay_alu instid0(VALU_DEP_2) | instskip(NEXT) | instid1(VALU_DEP_2)
	v_cvt_f64_f32_e32 v[6:7], v2
	v_mul_f64_e32 v[4:5], s[10:11], v[4:5]
	s_delay_alu instid0(VALU_DEP_2) | instskip(NEXT) | instid1(VALU_DEP_2)
	v_mul_f64_e32 v[6:7], s[10:11], v[6:7]
	v_and_or_b32 v2, 0x1ff, v5, v4
	s_delay_alu instid0(VALU_DEP_2)
	v_and_or_b32 v6, 0x1ff, v7, v6
	v_lshrrev_b32_e32 v4, 8, v5
	v_bfe_u32 v8, v5, 20, 11
	v_lshrrev_b32_e32 v9, 8, v7
	v_cmp_ne_u32_e32 vcc_lo, 0, v2
	v_bfe_u32 v10, v7, 20, 11
	v_lshrrev_b32_e32 v5, 16, v5
	v_sub_nc_u32_e32 v11, 0x3f1, v8
	v_add_nc_u32_e32 v8, 0xfffffc10, v8
	s_wait_alu 0xfffd
	v_cndmask_b32_e64 v2, 0, 1, vcc_lo
	v_cmp_ne_u32_e32 vcc_lo, 0, v6
	v_lshrrev_b32_e32 v7, 16, v7
	s_delay_alu instid0(VALU_DEP_3) | instskip(SKIP_4) | instid1(VALU_DEP_3)
	v_and_or_b32 v2, 0xffe, v4, v2
	s_wait_alu 0xfffd
	v_cndmask_b32_e64 v6, 0, 1, vcc_lo
	v_sub_nc_u32_e32 v4, 0x3f1, v10
	v_add_nc_u32_e32 v10, 0xfffffc10, v10
	v_and_or_b32 v6, 0xffe, v9, v6
	v_med3_i32 v9, v11, 0, 13
	v_or_b32_e32 v11, 0x1000, v2
	v_med3_i32 v4, v4, 0, 13
	s_delay_alu instid0(VALU_DEP_4) | instskip(NEXT) | instid1(VALU_DEP_3)
	v_or_b32_e32 v12, 0x1000, v6
	v_lshrrev_b32_e32 v13, v9, v11
	s_delay_alu instid0(VALU_DEP_2) | instskip(NEXT) | instid1(VALU_DEP_2)
	v_lshrrev_b32_e32 v14, v4, v12
	v_lshlrev_b32_e32 v9, v9, v13
	s_delay_alu instid0(VALU_DEP_2) | instskip(NEXT) | instid1(VALU_DEP_2)
	v_lshlrev_b32_e32 v4, v4, v14
	v_cmp_ne_u32_e32 vcc_lo, v9, v11
	v_lshl_or_b32 v11, v8, 12, v2
	s_wait_alu 0xfffd
	v_cndmask_b32_e64 v9, 0, 1, vcc_lo
	v_cmp_ne_u32_e32 vcc_lo, v4, v12
	v_lshl_or_b32 v12, v10, 12, v6
	s_delay_alu instid0(VALU_DEP_3) | instskip(SKIP_3) | instid1(VALU_DEP_2)
	v_or_b32_e32 v9, v13, v9
	s_wait_alu 0xfffd
	v_cndmask_b32_e64 v4, 0, 1, vcc_lo
	v_cmp_gt_i32_e32 vcc_lo, 1, v8
	v_or_b32_e32 v4, v14, v4
	s_wait_alu 0xfffd
	v_cndmask_b32_e32 v9, v11, v9, vcc_lo
	v_cmp_gt_i32_e32 vcc_lo, 1, v10
	s_wait_alu 0xfffd
	s_delay_alu instid0(VALU_DEP_2) | instskip(SKIP_2) | instid1(VALU_DEP_3)
	v_dual_cndmask_b32 v4, v12, v4 :: v_dual_and_b32 v11, 7, v9
	v_cmp_ne_u32_e32 vcc_lo, 0, v2
	v_lshrrev_b32_e32 v9, 2, v9
	v_cmp_eq_u32_e64 s0, 3, v11
	s_delay_alu instid0(VALU_DEP_4)
	v_and_b32_e32 v12, 7, v4
	s_wait_alu 0xfffd
	v_cndmask_b32_e64 v2, 0, 1, vcc_lo
	v_cmp_ne_u32_e32 vcc_lo, 0, v6
	v_lshrrev_b32_e32 v4, 2, v4
	v_cmp_lt_i32_e64 s1, 5, v12
	v_cmp_eq_u32_e64 s2, 3, v12
	s_wait_alu 0xfffd
	v_cndmask_b32_e64 v6, 0, 1, vcc_lo
	v_cmp_lt_i32_e32 vcc_lo, 5, v11
	v_lshl_or_b32 v2, v2, 9, 0x7c00
	s_delay_alu instid0(VALU_DEP_3)
	v_lshl_or_b32 v6, v6, 9, 0x7c00
	s_or_b32 vcc_lo, s0, vcc_lo
	s_wait_alu 0xfffe
	v_add_co_ci_u32_e32 v9, vcc_lo, 0, v9, vcc_lo
	s_or_b32 vcc_lo, s2, s1
	s_wait_alu 0xfffe
	v_add_co_ci_u32_e32 v4, vcc_lo, 0, v4, vcc_lo
	v_cmp_gt_i32_e32 vcc_lo, 31, v8
	s_wait_alu 0xfffd
	v_cndmask_b32_e32 v9, 0x7c00, v9, vcc_lo
	v_cmp_gt_i32_e32 vcc_lo, 31, v10
	s_wait_alu 0xfffd
	v_cndmask_b32_e32 v4, 0x7c00, v4, vcc_lo
	v_cmp_eq_u32_e32 vcc_lo, 0x40f, v8
	s_wait_alu 0xfffd
	v_cndmask_b32_e32 v2, v9, v2, vcc_lo
	v_cmp_eq_u32_e32 vcc_lo, 0x40f, v10
	s_delay_alu instid0(VALU_DEP_2)
	v_and_or_b32 v2, 0x8000, v5, v2
	s_wait_alu 0xfffd
	v_cndmask_b32_e32 v4, v4, v6, vcc_lo
	v_add_co_u32 v0, vcc_lo, v0, s14
	s_wait_alu 0xfffd
	v_add_co_ci_u32_e32 v1, vcc_lo, s15, v1, vcc_lo
	s_delay_alu instid0(VALU_DEP_3) | instskip(SKIP_1) | instid1(VALU_DEP_1)
	v_and_or_b32 v4, 0x8000, v7, v4
	v_and_b32_e32 v2, 0xffff, v2
	v_lshl_or_b32 v2, v4, 16, v2
	v_lshrrev_b32_e32 v4, 16, v3
	global_store_b32 v[0:1], v2, off
	global_load_b32 v2, v[68:69], off offset:6768
	s_wait_loadcnt 0x0
	v_lshrrev_b32_e32 v5, 16, v2
	s_delay_alu instid0(VALU_DEP_1) | instskip(SKIP_1) | instid1(VALU_DEP_2)
	v_mul_f16_e32 v6, v4, v5
	v_mul_f16_e32 v5, v3, v5
	v_fmac_f16_e32 v6, v3, v2
	s_delay_alu instid0(VALU_DEP_2) | instskip(NEXT) | instid1(VALU_DEP_2)
	v_fma_f16 v2, v2, v4, -v5
	v_cvt_f32_f16_e32 v3, v6
	s_delay_alu instid0(VALU_DEP_2) | instskip(NEXT) | instid1(VALU_DEP_2)
	v_cvt_f32_f16_e32 v4, v2
	v_cvt_f64_f32_e32 v[2:3], v3
	s_delay_alu instid0(VALU_DEP_2) | instskip(NEXT) | instid1(VALU_DEP_2)
	v_cvt_f64_f32_e32 v[4:5], v4
	v_mul_f64_e32 v[2:3], s[10:11], v[2:3]
	s_delay_alu instid0(VALU_DEP_2) | instskip(NEXT) | instid1(VALU_DEP_2)
	v_mul_f64_e32 v[4:5], s[10:11], v[4:5]
	v_and_or_b32 v2, 0x1ff, v3, v2
	s_delay_alu instid0(VALU_DEP_2)
	v_and_or_b32 v4, 0x1ff, v5, v4
	v_lshrrev_b32_e32 v6, 8, v3
	v_bfe_u32 v7, v3, 20, 11
	v_lshrrev_b32_e32 v8, 8, v5
	v_cmp_ne_u32_e32 vcc_lo, 0, v2
	v_bfe_u32 v9, v5, 20, 11
	v_lshrrev_b32_e32 v3, 16, v3
	v_sub_nc_u32_e32 v10, 0x3f1, v7
	v_add_nc_u32_e32 v7, 0xfffffc10, v7
	s_wait_alu 0xfffd
	v_cndmask_b32_e64 v2, 0, 1, vcc_lo
	v_cmp_ne_u32_e32 vcc_lo, 0, v4
	v_lshrrev_b32_e32 v5, 16, v5
	s_delay_alu instid0(VALU_DEP_3) | instskip(SKIP_4) | instid1(VALU_DEP_3)
	v_and_or_b32 v2, 0xffe, v6, v2
	s_wait_alu 0xfffd
	v_cndmask_b32_e64 v4, 0, 1, vcc_lo
	v_sub_nc_u32_e32 v6, 0x3f1, v9
	v_add_nc_u32_e32 v9, 0xfffffc10, v9
	v_and_or_b32 v4, 0xffe, v8, v4
	v_med3_i32 v8, v10, 0, 13
	v_or_b32_e32 v10, 0x1000, v2
	v_med3_i32 v6, v6, 0, 13
	s_delay_alu instid0(VALU_DEP_4) | instskip(NEXT) | instid1(VALU_DEP_3)
	v_or_b32_e32 v11, 0x1000, v4
	v_lshrrev_b32_e32 v12, v8, v10
	s_delay_alu instid0(VALU_DEP_2) | instskip(NEXT) | instid1(VALU_DEP_2)
	v_lshrrev_b32_e32 v13, v6, v11
	v_lshlrev_b32_e32 v8, v8, v12
	s_delay_alu instid0(VALU_DEP_2) | instskip(NEXT) | instid1(VALU_DEP_2)
	v_lshlrev_b32_e32 v6, v6, v13
	v_cmp_ne_u32_e32 vcc_lo, v8, v10
	v_lshl_or_b32 v10, v7, 12, v2
	s_wait_alu 0xfffd
	v_cndmask_b32_e64 v8, 0, 1, vcc_lo
	v_cmp_ne_u32_e32 vcc_lo, v6, v11
	v_lshl_or_b32 v11, v9, 12, v4
	s_delay_alu instid0(VALU_DEP_3) | instskip(SKIP_3) | instid1(VALU_DEP_2)
	v_or_b32_e32 v8, v12, v8
	s_wait_alu 0xfffd
	v_cndmask_b32_e64 v6, 0, 1, vcc_lo
	v_cmp_gt_i32_e32 vcc_lo, 1, v7
	v_or_b32_e32 v6, v13, v6
	s_wait_alu 0xfffd
	v_cndmask_b32_e32 v8, v10, v8, vcc_lo
	v_cmp_gt_i32_e32 vcc_lo, 1, v9
	s_delay_alu instid0(VALU_DEP_2)
	v_and_b32_e32 v10, 7, v8
	s_wait_alu 0xfffd
	v_cndmask_b32_e32 v6, v11, v6, vcc_lo
	v_cmp_ne_u32_e32 vcc_lo, 0, v2
	v_lshrrev_b32_e32 v8, 2, v8
	v_cmp_eq_u32_e64 s0, 3, v10
	s_delay_alu instid0(VALU_DEP_4)
	v_and_b32_e32 v11, 7, v6
	s_wait_alu 0xfffd
	v_cndmask_b32_e64 v2, 0, 1, vcc_lo
	v_cmp_ne_u32_e32 vcc_lo, 0, v4
	v_lshrrev_b32_e32 v6, 2, v6
	v_cmp_lt_i32_e64 s1, 5, v11
	v_cmp_eq_u32_e64 s2, 3, v11
	s_wait_alu 0xfffd
	v_cndmask_b32_e64 v4, 0, 1, vcc_lo
	v_cmp_lt_i32_e32 vcc_lo, 5, v10
	v_lshl_or_b32 v2, v2, 9, 0x7c00
	s_delay_alu instid0(VALU_DEP_3)
	v_lshl_or_b32 v4, v4, 9, 0x7c00
	s_or_b32 vcc_lo, s0, vcc_lo
	s_wait_alu 0xfffe
	v_add_co_ci_u32_e32 v8, vcc_lo, 0, v8, vcc_lo
	s_or_b32 vcc_lo, s2, s1
	s_wait_alu 0xfffe
	v_add_co_ci_u32_e32 v6, vcc_lo, 0, v6, vcc_lo
	v_cmp_gt_i32_e32 vcc_lo, 31, v7
	s_wait_alu 0xfffd
	v_cndmask_b32_e32 v8, 0x7c00, v8, vcc_lo
	v_cmp_gt_i32_e32 vcc_lo, 31, v9
	s_wait_alu 0xfffd
	v_cndmask_b32_e32 v6, 0x7c00, v6, vcc_lo
	v_cmp_eq_u32_e32 vcc_lo, 0x40f, v7
	s_wait_alu 0xfffd
	v_cndmask_b32_e32 v2, v8, v2, vcc_lo
	v_cmp_eq_u32_e32 vcc_lo, 0x40f, v9
	s_delay_alu instid0(VALU_DEP_2)
	v_and_or_b32 v2, 0x8000, v3, v2
	s_wait_alu 0xfffd
	v_cndmask_b32_e32 v4, v6, v4, vcc_lo
	v_add_co_u32 v0, vcc_lo, v0, s14
	s_wait_alu 0xfffd
	v_add_co_ci_u32_e32 v1, vcc_lo, s15, v1, vcc_lo
	s_delay_alu instid0(VALU_DEP_3) | instskip(SKIP_1) | instid1(VALU_DEP_1)
	v_and_or_b32 v3, 0x8000, v5, v4
	v_and_b32_e32 v2, 0xffff, v2
	v_lshl_or_b32 v2, v3, 16, v2
	global_store_b32 v[0:1], v2, off
	global_load_b32 v4, v[68:69], off offset:7632
	v_add_nc_u32_e32 v2, 0x1d80, v111
	ds_load_2addr_b32 v[2:3], v2 offset0:20 offset1:236
	s_wait_dscnt 0x0
	v_lshrrev_b32_e32 v5, 16, v2
	s_wait_loadcnt 0x0
	v_lshrrev_b32_e32 v6, 16, v4
	s_delay_alu instid0(VALU_DEP_1) | instskip(SKIP_1) | instid1(VALU_DEP_2)
	v_mul_f16_e32 v7, v5, v6
	v_mul_f16_e32 v6, v2, v6
	v_fmac_f16_e32 v7, v2, v4
	s_delay_alu instid0(VALU_DEP_2) | instskip(NEXT) | instid1(VALU_DEP_2)
	v_fma_f16 v2, v4, v5, -v6
	v_cvt_f32_f16_e32 v4, v7
	s_delay_alu instid0(VALU_DEP_2) | instskip(NEXT) | instid1(VALU_DEP_2)
	v_cvt_f32_f16_e32 v2, v2
	v_cvt_f64_f32_e32 v[4:5], v4
	s_delay_alu instid0(VALU_DEP_2) | instskip(NEXT) | instid1(VALU_DEP_2)
	v_cvt_f64_f32_e32 v[6:7], v2
	v_mul_f64_e32 v[4:5], s[10:11], v[4:5]
	s_delay_alu instid0(VALU_DEP_2) | instskip(NEXT) | instid1(VALU_DEP_2)
	v_mul_f64_e32 v[6:7], s[10:11], v[6:7]
	v_and_or_b32 v2, 0x1ff, v5, v4
	s_delay_alu instid0(VALU_DEP_2)
	v_and_or_b32 v6, 0x1ff, v7, v6
	v_lshrrev_b32_e32 v4, 8, v5
	v_bfe_u32 v8, v5, 20, 11
	v_lshrrev_b32_e32 v9, 8, v7
	v_cmp_ne_u32_e32 vcc_lo, 0, v2
	v_bfe_u32 v10, v7, 20, 11
	v_lshrrev_b32_e32 v5, 16, v5
	v_sub_nc_u32_e32 v11, 0x3f1, v8
	v_add_nc_u32_e32 v8, 0xfffffc10, v8
	s_wait_alu 0xfffd
	v_cndmask_b32_e64 v2, 0, 1, vcc_lo
	v_cmp_ne_u32_e32 vcc_lo, 0, v6
	v_lshrrev_b32_e32 v7, 16, v7
	s_delay_alu instid0(VALU_DEP_3) | instskip(SKIP_4) | instid1(VALU_DEP_3)
	v_and_or_b32 v2, 0xffe, v4, v2
	s_wait_alu 0xfffd
	v_cndmask_b32_e64 v6, 0, 1, vcc_lo
	v_sub_nc_u32_e32 v4, 0x3f1, v10
	v_add_nc_u32_e32 v10, 0xfffffc10, v10
	v_and_or_b32 v6, 0xffe, v9, v6
	v_med3_i32 v9, v11, 0, 13
	v_or_b32_e32 v11, 0x1000, v2
	v_med3_i32 v4, v4, 0, 13
	s_delay_alu instid0(VALU_DEP_4) | instskip(NEXT) | instid1(VALU_DEP_3)
	v_or_b32_e32 v12, 0x1000, v6
	v_lshrrev_b32_e32 v13, v9, v11
	s_delay_alu instid0(VALU_DEP_2) | instskip(NEXT) | instid1(VALU_DEP_2)
	v_lshrrev_b32_e32 v14, v4, v12
	v_lshlrev_b32_e32 v9, v9, v13
	s_delay_alu instid0(VALU_DEP_2) | instskip(NEXT) | instid1(VALU_DEP_2)
	v_lshlrev_b32_e32 v4, v4, v14
	v_cmp_ne_u32_e32 vcc_lo, v9, v11
	v_lshl_or_b32 v11, v8, 12, v2
	s_wait_alu 0xfffd
	v_cndmask_b32_e64 v9, 0, 1, vcc_lo
	v_cmp_ne_u32_e32 vcc_lo, v4, v12
	v_lshl_or_b32 v12, v10, 12, v6
	s_delay_alu instid0(VALU_DEP_3) | instskip(SKIP_3) | instid1(VALU_DEP_2)
	v_or_b32_e32 v9, v13, v9
	s_wait_alu 0xfffd
	v_cndmask_b32_e64 v4, 0, 1, vcc_lo
	v_cmp_gt_i32_e32 vcc_lo, 1, v8
	v_or_b32_e32 v4, v14, v4
	s_wait_alu 0xfffd
	v_cndmask_b32_e32 v9, v11, v9, vcc_lo
	v_cmp_gt_i32_e32 vcc_lo, 1, v10
	s_wait_alu 0xfffd
	s_delay_alu instid0(VALU_DEP_2) | instskip(SKIP_2) | instid1(VALU_DEP_3)
	v_dual_cndmask_b32 v4, v12, v4 :: v_dual_and_b32 v11, 7, v9
	v_cmp_ne_u32_e32 vcc_lo, 0, v2
	v_lshrrev_b32_e32 v9, 2, v9
	v_cmp_eq_u32_e64 s0, 3, v11
	s_delay_alu instid0(VALU_DEP_4)
	v_and_b32_e32 v12, 7, v4
	s_wait_alu 0xfffd
	v_cndmask_b32_e64 v2, 0, 1, vcc_lo
	v_cmp_ne_u32_e32 vcc_lo, 0, v6
	v_lshrrev_b32_e32 v4, 2, v4
	v_cmp_lt_i32_e64 s1, 5, v12
	v_cmp_eq_u32_e64 s2, 3, v12
	s_wait_alu 0xfffd
	v_cndmask_b32_e64 v6, 0, 1, vcc_lo
	v_cmp_lt_i32_e32 vcc_lo, 5, v11
	v_lshl_or_b32 v2, v2, 9, 0x7c00
	s_delay_alu instid0(VALU_DEP_3)
	v_lshl_or_b32 v6, v6, 9, 0x7c00
	s_or_b32 vcc_lo, s0, vcc_lo
	s_wait_alu 0xfffe
	v_add_co_ci_u32_e32 v9, vcc_lo, 0, v9, vcc_lo
	s_or_b32 vcc_lo, s2, s1
	s_wait_alu 0xfffe
	v_add_co_ci_u32_e32 v4, vcc_lo, 0, v4, vcc_lo
	v_cmp_gt_i32_e32 vcc_lo, 31, v8
	s_wait_alu 0xfffd
	v_cndmask_b32_e32 v9, 0x7c00, v9, vcc_lo
	v_cmp_gt_i32_e32 vcc_lo, 31, v10
	s_wait_alu 0xfffd
	v_cndmask_b32_e32 v4, 0x7c00, v4, vcc_lo
	v_cmp_eq_u32_e32 vcc_lo, 0x40f, v8
	s_wait_alu 0xfffd
	v_cndmask_b32_e32 v2, v9, v2, vcc_lo
	v_cmp_eq_u32_e32 vcc_lo, 0x40f, v10
	s_delay_alu instid0(VALU_DEP_2)
	v_and_or_b32 v2, 0x8000, v5, v2
	s_wait_alu 0xfffd
	v_cndmask_b32_e32 v4, v4, v6, vcc_lo
	v_add_co_u32 v0, vcc_lo, v0, s14
	s_wait_alu 0xfffd
	v_add_co_ci_u32_e32 v1, vcc_lo, s15, v1, vcc_lo
	s_delay_alu instid0(VALU_DEP_3) | instskip(SKIP_1) | instid1(VALU_DEP_1)
	v_and_or_b32 v4, 0x8000, v7, v4
	v_and_b32_e32 v2, 0xffff, v2
	v_lshl_or_b32 v2, v4, 16, v2
	v_lshrrev_b32_e32 v4, 16, v3
	global_store_b32 v[0:1], v2, off
	global_load_b32 v2, v[68:69], off offset:8496
	s_wait_loadcnt 0x0
	v_lshrrev_b32_e32 v5, 16, v2
	s_delay_alu instid0(VALU_DEP_1) | instskip(SKIP_1) | instid1(VALU_DEP_2)
	v_mul_f16_e32 v6, v4, v5
	v_mul_f16_e32 v5, v3, v5
	v_fmac_f16_e32 v6, v3, v2
	s_delay_alu instid0(VALU_DEP_2) | instskip(NEXT) | instid1(VALU_DEP_2)
	v_fma_f16 v2, v2, v4, -v5
	v_cvt_f32_f16_e32 v3, v6
	s_delay_alu instid0(VALU_DEP_2) | instskip(NEXT) | instid1(VALU_DEP_2)
	v_cvt_f32_f16_e32 v4, v2
	v_cvt_f64_f32_e32 v[2:3], v3
	s_delay_alu instid0(VALU_DEP_2) | instskip(NEXT) | instid1(VALU_DEP_2)
	v_cvt_f64_f32_e32 v[4:5], v4
	v_mul_f64_e32 v[2:3], s[10:11], v[2:3]
	s_delay_alu instid0(VALU_DEP_2) | instskip(NEXT) | instid1(VALU_DEP_2)
	v_mul_f64_e32 v[4:5], s[10:11], v[4:5]
	v_and_or_b32 v2, 0x1ff, v3, v2
	s_delay_alu instid0(VALU_DEP_2)
	v_and_or_b32 v4, 0x1ff, v5, v4
	v_lshrrev_b32_e32 v6, 8, v3
	v_bfe_u32 v7, v3, 20, 11
	v_lshrrev_b32_e32 v8, 8, v5
	v_cmp_ne_u32_e32 vcc_lo, 0, v2
	v_bfe_u32 v9, v5, 20, 11
	v_lshrrev_b32_e32 v3, 16, v3
	v_sub_nc_u32_e32 v10, 0x3f1, v7
	v_add_nc_u32_e32 v7, 0xfffffc10, v7
	s_wait_alu 0xfffd
	v_cndmask_b32_e64 v2, 0, 1, vcc_lo
	v_cmp_ne_u32_e32 vcc_lo, 0, v4
	v_lshrrev_b32_e32 v5, 16, v5
	s_delay_alu instid0(VALU_DEP_3) | instskip(SKIP_4) | instid1(VALU_DEP_3)
	v_and_or_b32 v2, 0xffe, v6, v2
	s_wait_alu 0xfffd
	v_cndmask_b32_e64 v4, 0, 1, vcc_lo
	v_sub_nc_u32_e32 v6, 0x3f1, v9
	v_add_nc_u32_e32 v9, 0xfffffc10, v9
	v_and_or_b32 v4, 0xffe, v8, v4
	v_med3_i32 v8, v10, 0, 13
	v_or_b32_e32 v10, 0x1000, v2
	v_med3_i32 v6, v6, 0, 13
	s_delay_alu instid0(VALU_DEP_4) | instskip(NEXT) | instid1(VALU_DEP_3)
	v_or_b32_e32 v11, 0x1000, v4
	v_lshrrev_b32_e32 v12, v8, v10
	s_delay_alu instid0(VALU_DEP_2) | instskip(NEXT) | instid1(VALU_DEP_2)
	v_lshrrev_b32_e32 v13, v6, v11
	v_lshlrev_b32_e32 v8, v8, v12
	s_delay_alu instid0(VALU_DEP_2) | instskip(NEXT) | instid1(VALU_DEP_2)
	v_lshlrev_b32_e32 v6, v6, v13
	v_cmp_ne_u32_e32 vcc_lo, v8, v10
	v_lshl_or_b32 v10, v7, 12, v2
	s_wait_alu 0xfffd
	v_cndmask_b32_e64 v8, 0, 1, vcc_lo
	v_cmp_ne_u32_e32 vcc_lo, v6, v11
	v_lshl_or_b32 v11, v9, 12, v4
	s_delay_alu instid0(VALU_DEP_3) | instskip(SKIP_3) | instid1(VALU_DEP_2)
	v_or_b32_e32 v8, v12, v8
	s_wait_alu 0xfffd
	v_cndmask_b32_e64 v6, 0, 1, vcc_lo
	v_cmp_gt_i32_e32 vcc_lo, 1, v7
	v_or_b32_e32 v6, v13, v6
	s_wait_alu 0xfffd
	v_cndmask_b32_e32 v8, v10, v8, vcc_lo
	v_cmp_gt_i32_e32 vcc_lo, 1, v9
	s_delay_alu instid0(VALU_DEP_2)
	v_and_b32_e32 v10, 7, v8
	s_wait_alu 0xfffd
	v_cndmask_b32_e32 v6, v11, v6, vcc_lo
	v_cmp_ne_u32_e32 vcc_lo, 0, v2
	v_lshrrev_b32_e32 v8, 2, v8
	v_cmp_eq_u32_e64 s0, 3, v10
	s_delay_alu instid0(VALU_DEP_4)
	v_and_b32_e32 v11, 7, v6
	s_wait_alu 0xfffd
	v_cndmask_b32_e64 v2, 0, 1, vcc_lo
	v_cmp_ne_u32_e32 vcc_lo, 0, v4
	v_lshrrev_b32_e32 v6, 2, v6
	v_cmp_lt_i32_e64 s1, 5, v11
	v_cmp_eq_u32_e64 s2, 3, v11
	s_wait_alu 0xfffd
	v_cndmask_b32_e64 v4, 0, 1, vcc_lo
	v_cmp_lt_i32_e32 vcc_lo, 5, v10
	v_lshl_or_b32 v2, v2, 9, 0x7c00
	s_delay_alu instid0(VALU_DEP_3)
	v_lshl_or_b32 v4, v4, 9, 0x7c00
	s_or_b32 vcc_lo, s0, vcc_lo
	s_wait_alu 0xfffe
	v_add_co_ci_u32_e32 v8, vcc_lo, 0, v8, vcc_lo
	s_or_b32 vcc_lo, s2, s1
	s_wait_alu 0xfffe
	v_add_co_ci_u32_e32 v6, vcc_lo, 0, v6, vcc_lo
	v_cmp_gt_i32_e32 vcc_lo, 31, v7
	s_wait_alu 0xfffd
	v_cndmask_b32_e32 v8, 0x7c00, v8, vcc_lo
	v_cmp_gt_i32_e32 vcc_lo, 31, v9
	s_wait_alu 0xfffd
	v_cndmask_b32_e32 v6, 0x7c00, v6, vcc_lo
	v_cmp_eq_u32_e32 vcc_lo, 0x40f, v7
	s_wait_alu 0xfffd
	v_cndmask_b32_e32 v2, v8, v2, vcc_lo
	v_cmp_eq_u32_e32 vcc_lo, 0x40f, v9
	s_delay_alu instid0(VALU_DEP_2)
	v_and_or_b32 v2, 0x8000, v3, v2
	s_wait_alu 0xfffd
	v_cndmask_b32_e32 v4, v6, v4, vcc_lo
	v_add_co_u32 v0, vcc_lo, v0, s14
	s_wait_alu 0xfffd
	v_add_co_ci_u32_e32 v1, vcc_lo, s15, v1, vcc_lo
	s_delay_alu instid0(VALU_DEP_3) | instskip(SKIP_1) | instid1(VALU_DEP_1)
	v_and_or_b32 v3, 0x8000, v5, v4
	v_and_b32_e32 v2, 0xffff, v2
	v_lshl_or_b32 v2, v3, 16, v2
	global_store_b32 v[0:1], v2, off
.LBB0_15:
	s_nop 0
	s_sendmsg sendmsg(MSG_DEALLOC_VGPRS)
	s_endpgm
	.section	.rodata,"a",@progbits
	.p2align	6, 0x0
	.amdhsa_kernel bluestein_single_back_len2160_dim1_half_op_CI_CI
		.amdhsa_group_segment_fixed_size 8640
		.amdhsa_private_segment_fixed_size 200
		.amdhsa_kernarg_size 104
		.amdhsa_user_sgpr_count 2
		.amdhsa_user_sgpr_dispatch_ptr 0
		.amdhsa_user_sgpr_queue_ptr 0
		.amdhsa_user_sgpr_kernarg_segment_ptr 1
		.amdhsa_user_sgpr_dispatch_id 0
		.amdhsa_user_sgpr_private_segment_size 0
		.amdhsa_wavefront_size32 1
		.amdhsa_uses_dynamic_stack 0
		.amdhsa_enable_private_segment 1
		.amdhsa_system_sgpr_workgroup_id_x 1
		.amdhsa_system_sgpr_workgroup_id_y 0
		.amdhsa_system_sgpr_workgroup_id_z 0
		.amdhsa_system_sgpr_workgroup_info 0
		.amdhsa_system_vgpr_workitem_id 0
		.amdhsa_next_free_vgpr 256
		.amdhsa_next_free_sgpr 18
		.amdhsa_reserve_vcc 1
		.amdhsa_float_round_mode_32 0
		.amdhsa_float_round_mode_16_64 0
		.amdhsa_float_denorm_mode_32 3
		.amdhsa_float_denorm_mode_16_64 3
		.amdhsa_fp16_overflow 0
		.amdhsa_workgroup_processor_mode 1
		.amdhsa_memory_ordered 1
		.amdhsa_forward_progress 0
		.amdhsa_round_robin_scheduling 0
		.amdhsa_exception_fp_ieee_invalid_op 0
		.amdhsa_exception_fp_denorm_src 0
		.amdhsa_exception_fp_ieee_div_zero 0
		.amdhsa_exception_fp_ieee_overflow 0
		.amdhsa_exception_fp_ieee_underflow 0
		.amdhsa_exception_fp_ieee_inexact 0
		.amdhsa_exception_int_div_zero 0
	.end_amdhsa_kernel
	.text
.Lfunc_end0:
	.size	bluestein_single_back_len2160_dim1_half_op_CI_CI, .Lfunc_end0-bluestein_single_back_len2160_dim1_half_op_CI_CI
                                        ; -- End function
	.section	.AMDGPU.csdata,"",@progbits
; Kernel info:
; codeLenInByte = 70624
; NumSgprs: 20
; NumVgprs: 256
; ScratchSize: 200
; MemoryBound: 0
; FloatMode: 240
; IeeeMode: 1
; LDSByteSize: 8640 bytes/workgroup (compile time only)
; SGPRBlocks: 2
; VGPRBlocks: 31
; NumSGPRsForWavesPerEU: 20
; NumVGPRsForWavesPerEU: 256
; Occupancy: 5
; WaveLimiterHint : 1
; COMPUTE_PGM_RSRC2:SCRATCH_EN: 1
; COMPUTE_PGM_RSRC2:USER_SGPR: 2
; COMPUTE_PGM_RSRC2:TRAP_HANDLER: 0
; COMPUTE_PGM_RSRC2:TGID_X_EN: 1
; COMPUTE_PGM_RSRC2:TGID_Y_EN: 0
; COMPUTE_PGM_RSRC2:TGID_Z_EN: 0
; COMPUTE_PGM_RSRC2:TIDIG_COMP_CNT: 0
	.text
	.p2alignl 7, 3214868480
	.fill 96, 4, 3214868480
	.type	__hip_cuid_93a977d8217d22ac,@object ; @__hip_cuid_93a977d8217d22ac
	.section	.bss,"aw",@nobits
	.globl	__hip_cuid_93a977d8217d22ac
__hip_cuid_93a977d8217d22ac:
	.byte	0                               ; 0x0
	.size	__hip_cuid_93a977d8217d22ac, 1

	.ident	"AMD clang version 19.0.0git (https://github.com/RadeonOpenCompute/llvm-project roc-6.4.0 25133 c7fe45cf4b819c5991fe208aaa96edf142730f1d)"
	.section	".note.GNU-stack","",@progbits
	.addrsig
	.addrsig_sym __hip_cuid_93a977d8217d22ac
	.amdgpu_metadata
---
amdhsa.kernels:
  - .args:
      - .actual_access:  read_only
        .address_space:  global
        .offset:         0
        .size:           8
        .value_kind:     global_buffer
      - .actual_access:  read_only
        .address_space:  global
        .offset:         8
        .size:           8
        .value_kind:     global_buffer
      - .actual_access:  read_only
        .address_space:  global
        .offset:         16
        .size:           8
        .value_kind:     global_buffer
      - .actual_access:  read_only
        .address_space:  global
        .offset:         24
        .size:           8
        .value_kind:     global_buffer
      - .actual_access:  read_only
        .address_space:  global
        .offset:         32
        .size:           8
        .value_kind:     global_buffer
      - .offset:         40
        .size:           8
        .value_kind:     by_value
      - .address_space:  global
        .offset:         48
        .size:           8
        .value_kind:     global_buffer
      - .address_space:  global
        .offset:         56
        .size:           8
        .value_kind:     global_buffer
      - .address_space:  global
        .offset:         64
        .size:           8
        .value_kind:     global_buffer
      - .address_space:  global
        .offset:         72
        .size:           8
        .value_kind:     global_buffer
      - .offset:         80
        .size:           4
        .value_kind:     by_value
      - .address_space:  global
        .offset:         88
        .size:           8
        .value_kind:     global_buffer
      - .address_space:  global
        .offset:         96
        .size:           8
        .value_kind:     global_buffer
    .group_segment_fixed_size: 8640
    .kernarg_segment_align: 8
    .kernarg_segment_size: 104
    .language:       OpenCL C
    .language_version:
      - 2
      - 0
    .max_flat_workgroup_size: 60
    .name:           bluestein_single_back_len2160_dim1_half_op_CI_CI
    .private_segment_fixed_size: 200
    .sgpr_count:     20
    .sgpr_spill_count: 0
    .symbol:         bluestein_single_back_len2160_dim1_half_op_CI_CI.kd
    .uniform_work_group_size: 1
    .uses_dynamic_stack: false
    .vgpr_count:     256
    .vgpr_spill_count: 49
    .wavefront_size: 32
    .workgroup_processor_mode: 1
amdhsa.target:   amdgcn-amd-amdhsa--gfx1201
amdhsa.version:
  - 1
  - 2
...

	.end_amdgpu_metadata
